;; amdgpu-corpus repo=ROCm/rocFFT kind=compiled arch=gfx906 opt=O3
	.text
	.amdgcn_target "amdgcn-amd-amdhsa--gfx906"
	.amdhsa_code_object_version 6
	.protected	bluestein_single_back_len880_dim1_sp_op_CI_CI ; -- Begin function bluestein_single_back_len880_dim1_sp_op_CI_CI
	.globl	bluestein_single_back_len880_dim1_sp_op_CI_CI
	.p2align	8
	.type	bluestein_single_back_len880_dim1_sp_op_CI_CI,@function
bluestein_single_back_len880_dim1_sp_op_CI_CI: ; @bluestein_single_back_len880_dim1_sp_op_CI_CI
; %bb.0:
	s_load_dwordx4 s[16:19], s[4:5], 0x28
	v_mul_u32_u24_e32 v1, 0x2e9, v0
	v_lshrrev_b32_e32 v1, 16, v1
	v_lshl_add_u32 v68, s6, 1, v1
	v_mov_b32_e32 v69, 0
	s_waitcnt lgkmcnt(0)
	v_cmp_gt_u64_e32 vcc, s[16:17], v[68:69]
	s_and_saveexec_b64 s[0:1], vcc
	s_cbranch_execz .LBB0_10
; %bb.1:
	s_load_dwordx4 s[8:11], s[4:5], 0x18
	s_load_dwordx4 s[0:3], s[4:5], 0x0
	v_mul_lo_u16_e32 v2, 0x58, v1
	v_sub_u16_e32 v79, v0, v2
	v_lshlrev_b32_e32 v26, 3, v79
	s_waitcnt lgkmcnt(0)
	s_load_dwordx4 s[12:15], s[8:9], 0x0
	global_load_dwordx2 v[73:74], v26, s[0:1]
	global_load_dwordx2 v[69:70], v26, s[0:1] offset:3520
	v_lshlrev_b32_e32 v46, 1, v79
	v_add_u32_e32 v47, 0x160, v46
	s_waitcnt lgkmcnt(0)
	v_mad_u64_u32 v[2:3], s[6:7], s14, v68, 0
	v_mad_u64_u32 v[4:5], s[6:7], s12, v79, 0
	v_mov_b32_e32 v0, v3
	s_mul_hi_u32 s9, s12, 0xfffff500
	v_mov_b32_e32 v3, v5
	v_mad_u64_u32 v[5:6], s[6:7], s15, v68, v[0:1]
	v_mad_u64_u32 v[6:7], s[6:7], s13, v79, v[3:4]
	v_mov_b32_e32 v3, v5
	v_lshlrev_b64 v[2:3], 3, v[2:3]
	v_mov_b32_e32 v0, s19
	v_mov_b32_e32 v5, v6
	v_add_co_u32_e32 v6, vcc, s18, v2
	v_addc_co_u32_e32 v0, vcc, v0, v3, vcc
	v_lshlrev_b64 v[2:3], 3, v[4:5]
	s_mul_i32 s6, s13, 0xdc0
	v_add_co_u32_e32 v2, vcc, v6, v2
	v_addc_co_u32_e32 v3, vcc, v0, v3, vcc
	v_mov_b32_e32 v0, s1
	v_add_co_u32_e32 v18, vcc, s0, v26
	s_mul_hi_u32 s7, s12, 0xdc0
	v_addc_co_u32_e32 v0, vcc, 0, v0, vcc
	s_add_i32 s6, s7, s6
	s_mul_i32 s7, s12, 0xdc0
	v_mov_b32_e32 v5, s6
	v_add_co_u32_e32 v4, vcc, s7, v2
	s_mul_i32 s8, s13, 0xfffff500
	s_sub_i32 s9, s9, s12
	v_addc_co_u32_e32 v5, vcc, v3, v5, vcc
	s_add_i32 s8, s9, s8
	s_mul_i32 s9, s12, 0xfffff500
	v_mov_b32_e32 v7, s8
	v_add_co_u32_e32 v6, vcc, s9, v4
	v_addc_co_u32_e32 v7, vcc, v5, v7, vcc
	v_mov_b32_e32 v9, s6
	v_add_co_u32_e32 v8, vcc, s7, v6
	v_addc_co_u32_e32 v9, vcc, v7, v9, vcc
	s_movk_i32 s12, 0x1000
	global_load_dwordx2 v[10:11], v[2:3], off
	global_load_dwordx2 v[12:13], v[4:5], off
	;; [unrolled: 1-line block ×4, first 2 shown]
	v_add_co_u32_e32 v2, vcc, s12, v18
	v_addc_co_u32_e32 v3, vcc, 0, v0, vcc
	v_mov_b32_e32 v0, s8
	v_add_co_u32_e32 v4, vcc, s9, v8
	v_addc_co_u32_e32 v5, vcc, v9, v0, vcc
	global_load_dwordx2 v[6:7], v[4:5], off
	global_load_dwordx2 v[75:76], v26, s[0:1] offset:704
	global_load_dwordx2 v[66:67], v26, s[0:1] offset:1408
	v_mov_b32_e32 v0, s6
	v_add_co_u32_e32 v4, vcc, s7, v4
	v_addc_co_u32_e32 v5, vcc, v5, v0, vcc
	global_load_dwordx2 v[8:9], v[4:5], off
	global_load_dwordx2 v[71:72], v[2:3], off offset:128
	global_load_dwordx2 v[64:65], v[2:3], off offset:832
	v_mov_b32_e32 v0, s8
	v_add_co_u32_e32 v4, vcc, s9, v4
	v_addc_co_u32_e32 v5, vcc, v5, v0, vcc
	global_load_dwordx2 v[18:19], v[4:5], off
	global_load_dwordx2 v[62:63], v26, s[0:1] offset:2112
	v_mov_b32_e32 v0, s6
	v_add_co_u32_e32 v4, vcc, s7, v4
	v_addc_co_u32_e32 v5, vcc, v5, v0, vcc
	global_load_dwordx2 v[20:21], v[4:5], off
	global_load_dwordx2 v[60:61], v[2:3], off offset:1536
	v_mov_b32_e32 v0, s8
	v_add_co_u32_e32 v4, vcc, s9, v4
	v_addc_co_u32_e32 v5, vcc, v5, v0, vcc
	global_load_dwordx2 v[22:23], v[4:5], off
	global_load_dwordx2 v[58:59], v26, s[0:1] offset:2816
	v_mov_b32_e32 v0, s6
	v_add_co_u32_e32 v4, vcc, s7, v4
	v_addc_co_u32_e32 v5, vcc, v5, v0, vcc
	global_load_dwordx2 v[24:25], v[4:5], off
	global_load_dwordx2 v[56:57], v[2:3], off offset:2240
	v_and_b32_e32 v0, 1, v1
	v_mov_b32_e32 v1, 0x370
	v_cmp_eq_u32_e32 vcc, 1, v0
	v_cndmask_b32_e32 v1, 0, v1, vcc
	v_lshlrev_b32_e32 v81, 3, v1
	v_add_u32_e32 v80, v81, v26
	v_add_u32_e32 v26, 0x400, v80
	;; [unrolled: 1-line block ×3, first 2 shown]
	s_load_dwordx4 s[8:11], s[10:11], 0x0
	s_movk_i32 s6, 0x58
	v_add_co_u32_e32 v96, vcc, s6, v79
	v_lshl_add_u32 v48, v79, 4, v81
	v_lshl_add_u32 v49, v96, 4, v81
	;; [unrolled: 1-line block ×3, first 2 shown]
	v_add_u32_e32 v77, 0x210, v46
	v_add_u32_e32 v78, 0x2c0, v46
	v_lshl_add_u32 v51, v77, 3, v81
	v_lshl_add_u32 v52, v78, 3, v81
	s_movk_i32 s6, 0xfc
	v_lshlrev_b32_e32 v82, 1, v96
	s_load_dwordx2 s[4:5], s[4:5], 0x38
	s_movk_i32 s12, 0x50
	v_cmp_gt_u16_e32 vcc, s12, v79
	s_waitcnt vmcnt(17)
	v_mul_f32_e32 v0, v11, v74
	s_waitcnt vmcnt(16)
	v_mul_f32_e32 v2, v13, v70
	v_mul_f32_e32 v3, v12, v70
	v_fmac_f32_e32 v2, v12, v69
	v_fma_f32 v3, v13, v69, -v3
	v_mul_f32_e32 v1, v10, v74
	ds_write_b64 v80, v[2:3] offset:3520
	v_fmac_f32_e32 v0, v10, v73
	v_fma_f32 v1, v11, v73, -v1
	s_waitcnt vmcnt(12)
	v_mul_f32_e32 v2, v15, v76
	v_mul_f32_e32 v3, v14, v76
	v_fmac_f32_e32 v2, v14, v75
	v_fma_f32 v3, v15, v75, -v3
	ds_write2_b64 v80, v[0:1], v[2:3] offset1:88
	s_waitcnt vmcnt(11)
	v_mul_f32_e32 v3, v7, v67
	s_waitcnt vmcnt(9)
	v_mul_f32_e32 v0, v16, v72
	v_fma_f32 v2, v17, v71, -v0
	v_mul_f32_e32 v0, v6, v67
	v_mul_f32_e32 v1, v17, v72
	v_fma_f32 v4, v7, v66, -v0
	s_waitcnt vmcnt(8)
	v_mul_f32_e32 v5, v9, v65
	v_mul_f32_e32 v0, v8, v65
	v_fmac_f32_e32 v1, v16, v71
	v_fmac_f32_e32 v3, v6, v66
	;; [unrolled: 1-line block ×3, first 2 shown]
	v_fma_f32 v6, v9, v64, -v0
	v_add_u32_e32 v0, 0x1000, v80
	ds_write2_b64 v0, v[1:2], v[5:6] offset0:16 offset1:104
	s_waitcnt vmcnt(6)
	v_mul_f32_e32 v1, v19, v63
	v_mul_f32_e32 v2, v18, v63
	v_fmac_f32_e32 v1, v18, v62
	v_fma_f32 v2, v19, v62, -v2
	ds_write2_b64 v26, v[3:4], v[1:2] offset0:48 offset1:136
	s_waitcnt vmcnt(4)
	v_mul_f32_e32 v1, v21, v61
	s_waitcnt vmcnt(2)
	v_mul_f32_e32 v3, v23, v59
	v_mul_f32_e32 v4, v22, v59
	v_fmac_f32_e32 v3, v22, v58
	v_fma_f32 v4, v23, v58, -v4
	v_mul_f32_e32 v2, v20, v61
	ds_write_b64 v80, v[3:4] offset:2816
	s_waitcnt vmcnt(0)
	v_mul_f32_e32 v3, v25, v57
	v_mul_f32_e32 v4, v24, v57
	v_fmac_f32_e32 v1, v20, v60
	v_fma_f32 v2, v21, v60, -v2
	v_fmac_f32_e32 v3, v24, v56
	v_fma_f32 v4, v25, v56, -v4
	ds_write2_b64 v27, v[1:2], v[3:4] offset0:64 offset1:152
	v_add_u32_e32 v1, 0x800, v80
	s_waitcnt lgkmcnt(0)
	s_barrier
	ds_read2_b64 v[2:5], v80 offset1:88
	ds_read2_b64 v[6:9], v1 offset0:96 offset1:184
	ds_read2_b64 v[10:13], v0 offset0:16 offset1:104
	;; [unrolled: 1-line block ×4, first 2 shown]
	s_waitcnt lgkmcnt(0)
	s_barrier
	v_sub_f32_e32 v10, v4, v10
	v_sub_f32_e32 v24, v2, v8
	;; [unrolled: 1-line block ×4, first 2 shown]
	v_fma_f32 v22, v2, 2.0, -v24
	v_fma_f32 v23, v3, 2.0, -v25
	;; [unrolled: 1-line block ×4, first 2 shown]
	v_sub_f32_e32 v4, v14, v12
	v_sub_f32_e32 v5, v15, v13
	v_fma_f32 v2, v14, 2.0, -v4
	v_fma_f32 v3, v15, 2.0, -v5
	v_sub_f32_e32 v14, v16, v18
	v_sub_f32_e32 v15, v17, v19
	;; [unrolled: 1-line block ×4, first 2 shown]
	ds_write_b128 v48, v[22:25]
	v_and_b32_e32 v22, 1, v79
	v_fma_f32 v12, v16, 2.0, -v14
	v_fma_f32 v13, v17, 2.0, -v15
	;; [unrolled: 1-line block ×4, first 2 shown]
	ds_write_b128 v49, v[8:11]
	ds_write_b128 v50, v[2:5]
	v_lshlrev_b32_e32 v2, 3, v22
	ds_write_b128 v51, v[12:15]
	ds_write_b128 v52, v[16:19]
	s_waitcnt lgkmcnt(0)
	s_barrier
	global_load_dwordx2 v[40:41], v2, s[2:3]
	ds_read2_b64 v[2:5], v1 offset0:96 offset1:184
	ds_read2_b64 v[6:9], v80 offset1:88
	ds_read2_b64 v[10:13], v0 offset0:16 offset1:104
	ds_read2_b64 v[14:17], v26 offset0:48 offset1:136
	;; [unrolled: 1-line block ×3, first 2 shown]
	s_waitcnt vmcnt(0) lgkmcnt(0)
	s_barrier
	v_mul_f32_e32 v23, v5, v41
	v_fma_f32 v23, v4, v40, -v23
	v_mul_f32_e32 v24, v4, v41
	v_mul_f32_e32 v4, v11, v41
	v_fma_f32 v25, v10, v40, -v4
	v_mul_f32_e32 v4, v13, v41
	v_fma_f32 v29, v12, v40, -v4
	v_mul_f32_e32 v4, v19, v41
	v_fmac_f32_e32 v24, v5, v40
	v_fma_f32 v31, v18, v40, -v4
	v_mul_f32_e32 v4, v21, v41
	v_fma_f32 v33, v20, v40, -v4
	v_sub_f32_e32 v4, v6, v23
	v_sub_f32_e32 v5, v7, v24
	v_and_or_b32 v23, v46, s6, v22
	v_fma_f32 v6, v6, 2.0, -v4
	v_fma_f32 v7, v7, 2.0, -v5
	v_lshl_add_u32 v53, v23, 3, v81
	s_movk_i32 s6, 0x1fc
	ds_write2_b64 v53, v[6:7], v[4:5] offset1:2
	v_and_or_b32 v4, v82, s6, v22
	s_movk_i32 s6, 0x3fc
	v_mul_f32_e32 v28, v10, v41
	v_mul_f32_e32 v30, v12, v41
	;; [unrolled: 1-line block ×4, first 2 shown]
	v_lshl_add_u32 v54, v4, 3, v81
	v_and_or_b32 v4, v47, s6, v22
	v_fmac_f32_e32 v28, v11, v40
	v_fmac_f32_e32 v30, v13, v40
	;; [unrolled: 1-line block ×4, first 2 shown]
	v_lshl_add_u32 v55, v4, 3, v81
	v_and_or_b32 v4, v77, s6, v22
	v_sub_f32_e32 v10, v8, v25
	v_sub_f32_e32 v11, v9, v28
	;; [unrolled: 1-line block ×8, first 2 shown]
	v_lshl_add_u32 v84, v4, 3, v81
	v_and_or_b32 v4, v78, s6, v22
	v_fma_f32 v8, v8, 2.0, -v10
	v_fma_f32 v9, v9, 2.0, -v11
	;; [unrolled: 1-line block ×8, first 2 shown]
	v_lshl_add_u32 v85, v4, 3, v81
	v_and_b32_e32 v22, 3, v79
	ds_write2_b64 v54, v[8:9], v[10:11] offset1:2
	ds_write2_b64 v55, v[14:15], v[12:13] offset1:2
	;; [unrolled: 1-line block ×4, first 2 shown]
	v_lshlrev_b32_e32 v2, 3, v22
	s_waitcnt lgkmcnt(0)
	s_barrier
	global_load_dwordx2 v[42:43], v2, s[2:3] offset:16
	ds_read2_b64 v[2:5], v1 offset0:96 offset1:184
	ds_read2_b64 v[6:9], v80 offset1:88
	ds_read2_b64 v[10:13], v0 offset0:16 offset1:104
	ds_read2_b64 v[14:17], v26 offset0:48 offset1:136
	;; [unrolled: 1-line block ×3, first 2 shown]
	s_movk_i32 s6, 0xf8
	s_waitcnt vmcnt(0) lgkmcnt(0)
	s_barrier
	v_mul_f32_e32 v23, v5, v43
	v_fma_f32 v23, v4, v42, -v23
	v_mul_f32_e32 v24, v4, v43
	v_mul_f32_e32 v4, v11, v43
	v_fma_f32 v25, v10, v42, -v4
	v_mul_f32_e32 v4, v13, v43
	v_fma_f32 v29, v12, v42, -v4
	v_mul_f32_e32 v4, v19, v43
	v_fmac_f32_e32 v24, v5, v42
	v_fma_f32 v31, v18, v42, -v4
	v_mul_f32_e32 v4, v21, v43
	v_fma_f32 v33, v20, v42, -v4
	v_sub_f32_e32 v4, v6, v23
	v_sub_f32_e32 v5, v7, v24
	v_and_or_b32 v23, v46, s6, v22
	v_fma_f32 v6, v6, 2.0, -v4
	v_fma_f32 v7, v7, 2.0, -v5
	v_lshl_add_u32 v86, v23, 3, v81
	s_movk_i32 s6, 0x1f8
	v_mul_f32_e32 v28, v10, v43
	v_mul_f32_e32 v30, v12, v43
	v_mul_f32_e32 v32, v18, v43
	ds_write2_b64 v86, v[6:7], v[4:5] offset1:4
	v_and_or_b32 v4, v82, s6, v22
	s_movk_i32 s6, 0x3f8
	v_fmac_f32_e32 v28, v11, v42
	v_fmac_f32_e32 v30, v13, v42
	;; [unrolled: 1-line block ×3, first 2 shown]
	v_mul_f32_e32 v34, v20, v43
	v_lshl_add_u32 v87, v4, 3, v81
	v_and_or_b32 v4, v47, s6, v22
	v_fmac_f32_e32 v34, v21, v42
	v_sub_f32_e32 v10, v8, v25
	v_sub_f32_e32 v11, v9, v28
	;; [unrolled: 1-line block ×6, first 2 shown]
	v_lshl_add_u32 v88, v4, 3, v81
	v_and_or_b32 v4, v77, s6, v22
	v_fma_f32 v8, v8, 2.0, -v10
	v_fma_f32 v9, v9, 2.0, -v11
	;; [unrolled: 1-line block ×6, first 2 shown]
	v_sub_f32_e32 v20, v2, v33
	v_sub_f32_e32 v21, v3, v34
	v_lshl_add_u32 v89, v4, 3, v81
	v_and_or_b32 v4, v78, s6, v22
	v_fma_f32 v2, v2, 2.0, -v20
	v_fma_f32 v3, v3, 2.0, -v21
	ds_write2_b64 v87, v[8:9], v[10:11] offset1:4
	ds_write2_b64 v88, v[14:15], v[12:13] offset1:4
	;; [unrolled: 1-line block ×3, first 2 shown]
	v_lshl_add_u32 v90, v4, 3, v81
	v_and_b32_e32 v18, 7, v79
	ds_write2_b64 v90, v[2:3], v[20:21] offset1:4
	v_lshlrev_b32_e32 v2, 3, v18
	s_waitcnt lgkmcnt(0)
	s_barrier
	global_load_dwordx2 v[44:45], v2, s[2:3] offset:48
	ds_read2_b64 v[2:5], v1 offset0:96 offset1:184
	ds_read2_b64 v[6:9], v80 offset1:88
	ds_read2_b64 v[10:13], v0 offset0:16 offset1:104
	ds_read2_b64 v[14:17], v27 offset0:64 offset1:152
	s_movk_i32 s6, 0xf0
	s_waitcnt vmcnt(0) lgkmcnt(3)
	v_mul_f32_e32 v19, v5, v45
	v_fma_f32 v19, v4, v44, -v19
	v_mul_f32_e32 v4, v4, v45
	v_fmac_f32_e32 v4, v5, v44
	s_waitcnt lgkmcnt(1)
	v_mul_f32_e32 v5, v11, v45
	v_fma_f32 v24, v10, v44, -v5
	v_mul_f32_e32 v10, v10, v45
	v_mul_f32_e32 v5, v13, v45
	v_fmac_f32_e32 v10, v11, v44
	v_fma_f32 v11, v12, v44, -v5
	v_mul_f32_e32 v12, v12, v45
	s_waitcnt lgkmcnt(0)
	v_mul_f32_e32 v5, v15, v45
	v_fmac_f32_e32 v12, v13, v44
	v_fma_f32 v13, v14, v44, -v5
	v_mul_f32_e32 v14, v14, v45
	v_mul_f32_e32 v5, v17, v45
	v_fmac_f32_e32 v14, v15, v44
	v_fma_f32 v15, v16, v44, -v5
	v_sub_f32_e32 v22, v6, v19
	v_sub_f32_e32 v23, v7, v4
	v_fma_f32 v20, v6, 2.0, -v22
	v_fma_f32 v21, v7, 2.0, -v23
	ds_read2_b64 v[4:7], v26 offset0:48 offset1:136
	v_sub_f32_e32 v38, v2, v15
	v_fma_f32 v36, v2, 2.0, -v38
	v_and_or_b32 v2, v46, s6, v18
	s_movk_i32 s6, 0x1f0
	v_lshl_add_u32 v91, v2, 3, v81
	v_and_or_b32 v2, v82, s6, v18
	s_movk_i32 s6, 0x3f0
	v_mul_f32_e32 v16, v16, v45
	v_lshl_add_u32 v92, v2, 3, v81
	v_and_or_b32 v2, v47, s6, v18
	v_fmac_f32_e32 v16, v17, v44
	v_lshl_add_u32 v93, v2, 3, v81
	v_and_or_b32 v2, v77, s6, v18
	v_sub_f32_e32 v26, v8, v24
	v_sub_f32_e32 v27, v9, v10
	s_waitcnt lgkmcnt(0)
	v_sub_f32_e32 v30, v4, v11
	v_sub_f32_e32 v31, v5, v12
	;; [unrolled: 1-line block ×5, first 2 shown]
	v_lshl_add_u32 v94, v2, 3, v81
	v_and_or_b32 v2, v78, s6, v18
	v_fma_f32 v24, v8, 2.0, -v26
	v_fma_f32 v25, v9, 2.0, -v27
	;; [unrolled: 1-line block ×7, first 2 shown]
	v_lshl_add_u32 v95, v2, 3, v81
	s_barrier
	ds_write2_b64 v91, v[20:21], v[22:23] offset1:8
	ds_write2_b64 v92, v[24:25], v[26:27] offset1:8
	;; [unrolled: 1-line block ×5, first 2 shown]
	s_waitcnt lgkmcnt(0)
	s_barrier
	s_waitcnt lgkmcnt(0)
                                        ; implicit-def: $vgpr46
	s_and_saveexec_b64 s[6:7], vcc
	s_cbranch_execz .LBB0_3
; %bb.2:
	ds_read2_b64 v[20:23], v80 offset1:80
	ds_read2_b64 v[24:27], v80 offset0:160 offset1:240
	ds_read2_b64 v[28:31], v1 offset0:64 offset1:144
	v_add_u32_e32 v1, 0xc00, v80
	ds_read2_b64 v[32:35], v1 offset0:96 offset1:176
	ds_read2_b64 v[36:39], v0 offset0:128 offset1:208
	ds_read_b64 v[46:47], v80 offset:6400
.LBB0_3:
	s_or_b64 exec, exec, s[6:7]
	v_mov_b32_e32 v0, s2
	v_and_b32_e32 v82, 15, v79
	v_mov_b32_e32 v1, s3
	v_mad_u64_u32 v[77:78], s[6:7], v82, s12, v[0:1]
	s_mov_b32 s12, 0x3f575c64
	global_load_dwordx4 v[12:15], v[77:78], off offset:112
	global_load_dwordx4 v[4:7], v[77:78], off offset:128
	;; [unrolled: 1-line block ×5, first 2 shown]
	s_mov_b32 s13, 0x3ed4b147
	s_mov_b32 s14, 0xbe11bafb
	;; [unrolled: 1-line block ×4, first 2 shown]
	s_waitcnt vmcnt(0) lgkmcnt(0)
	s_barrier
	v_mul_f32_e32 v97, v22, v13
	v_mul_f32_e32 v98, v24, v15
	v_fmac_f32_e32 v97, v23, v12
	v_mul_f32_e32 v103, v34, v9
	v_mul_f32_e32 v107, v46, v19
	;; [unrolled: 1-line block ×4, first 2 shown]
	v_fmac_f32_e32 v107, v47, v18
	v_mul_f32_e32 v77, v23, v13
	v_mul_f32_e32 v99, v26, v5
	;; [unrolled: 1-line block ×8, first 2 shown]
	v_fmac_f32_e32 v98, v25, v14
	v_fmac_f32_e32 v103, v35, v8
	v_fma_f32 v35, v38, v16, -v115
	v_fmac_f32_e32 v105, v39, v16
	v_sub_f32_e32 v115, v97, v107
	v_mul_f32_e32 v78, v25, v15
	v_mul_f32_e32 v100, v28, v7
	;; [unrolled: 1-line block ×4, first 2 shown]
	v_fma_f32 v106, v22, v12, -v77
	v_fmac_f32_e32 v99, v27, v4
	v_fmac_f32_e32 v101, v31, v0
	v_fma_f32 v31, v32, v2, -v112
	v_fma_f32 v32, v34, v8, -v113
	;; [unrolled: 1-line block ×3, first 2 shown]
	v_fmac_f32_e32 v104, v37, v10
	v_fma_f32 v36, v46, v18, -v116
	v_sub_f32_e32 v116, v98, v105
	v_mul_f32_e32 v38, 0xbf0a6770, v115
	v_mul_f32_e32 v83, v27, v5
	v_fma_f32 v108, v24, v14, -v78
	v_fmac_f32_e32 v100, v29, v6
	v_fmac_f32_e32 v102, v33, v2
	v_add_f32_e32 v22, v106, v36
	v_sub_f32_e32 v120, v106, v36
	v_sub_f32_e32 v117, v99, v104
	v_mul_f32_e32 v39, 0xbf68dda4, v116
	v_mov_b32_e32 v33, v38
	v_mul_f32_e32 v110, v29, v7
	v_fma_f32 v109, v26, v4, -v83
	v_fma_f32 v30, v30, v0, -v111
	v_add_f32_e32 v26, v97, v107
	v_add_f32_e32 v23, v108, v35
	v_sub_f32_e32 v121, v108, v35
	v_sub_f32_e32 v118, v100, v103
	v_mul_f32_e32 v111, 0xbf0a6770, v120
	v_mul_f32_e32 v46, 0xbf7d64f0, v117
	v_mov_b32_e32 v77, v39
	v_fmac_f32_e32 v33, 0x3f575c64, v22
	v_fma_f32 v110, v28, v6, -v110
	v_add_f32_e32 v27, v98, v105
	v_add_f32_e32 v24, v109, v34
	v_sub_f32_e32 v122, v109, v34
	v_mul_f32_e32 v112, 0xbf68dda4, v121
	v_mul_f32_e32 v47, 0xbf4178ce, v118
	v_fma_f32 v37, v26, s12, -v111
	v_mov_b32_e32 v83, v46
	v_fmac_f32_e32 v77, 0x3ed4b147, v23
	v_add_f32_e32 v33, v20, v33
	v_add_f32_e32 v28, v99, v104
	v_add_f32_e32 v25, v110, v32
	v_sub_f32_e32 v123, v110, v32
	v_mul_f32_e32 v113, 0xbf7d64f0, v122
	v_fma_f32 v78, v27, s13, -v112
	v_mov_b32_e32 v124, v47
	v_add_f32_e32 v37, v21, v37
	v_fmac_f32_e32 v83, 0xbe11bafb, v24
	v_add_f32_e32 v33, v77, v33
	v_add_f32_e32 v29, v100, v103
	v_mul_f32_e32 v114, 0xbf4178ce, v123
	v_fma_f32 v119, v28, s14, -v113
	v_fmac_f32_e32 v124, 0xbf27a4f4, v25
	v_add_f32_e32 v37, v78, v37
	v_add_f32_e32 v33, v83, v33
	v_sub_f32_e32 v125, v101, v102
	v_add_f32_e32 v37, v119, v37
	v_add_f32_e32 v77, v124, v33
	v_fma_f32 v33, v29, s15, -v114
	v_mul_f32_e32 v119, 0xbe903f40, v125
	v_add_f32_e32 v78, v33, v37
	v_add_f32_e32 v33, v30, v31
	v_sub_f32_e32 v126, v30, v31
	v_mov_b32_e32 v83, v119
	v_add_f32_e32 v37, v101, v102
	v_mul_f32_e32 v124, 0xbe903f40, v126
	v_fmac_f32_e32 v83, 0xbf75a155, v33
	v_add_f32_e32 v77, v83, v77
	v_fma_f32 v83, v37, s16, -v124
	v_add_f32_e32 v78, v83, v78
	v_lshrrev_b32_e32 v83, 4, v79
	s_and_saveexec_b64 s[6:7], vcc
	s_cbranch_execz .LBB0_5
; %bb.4:
	v_mul_f32_e32 v135, 0xbe11bafb, v26
	v_mov_b32_e32 v127, v135
	v_mul_f32_e32 v136, 0xbf75a155, v27
	v_fmac_f32_e32 v127, 0x3f7d64f0, v120
	v_mov_b32_e32 v128, v136
	v_add_f32_e32 v127, v21, v127
	v_fmac_f32_e32 v128, 0xbe903f40, v121
	v_mul_f32_e32 v147, 0x3ed4b147, v28
	v_add_f32_e32 v127, v128, v127
	v_mov_b32_e32 v128, v147
	v_fmac_f32_e32 v128, 0xbf68dda4, v122
	v_mul_f32_e32 v148, 0x3f575c64, v29
	v_add_f32_e32 v127, v128, v127
	v_mov_b32_e32 v128, v148
	;; [unrolled: 4-line block ×4, first 2 shown]
	v_mul_f32_e32 v151, 0x3e903f40, v116
	v_fmac_f32_e32 v127, 0xbe11bafb, v22
	v_mov_b32_e32 v129, v151
	v_add_f32_e32 v127, v20, v127
	v_fmac_f32_e32 v129, 0xbf75a155, v23
	v_mul_f32_e32 v152, 0x3f68dda4, v117
	v_add_f32_e32 v127, v129, v127
	v_mov_b32_e32 v129, v152
	v_fmac_f32_e32 v129, 0x3ed4b147, v24
	v_mul_f32_e32 v153, 0xbf0a6770, v118
	v_add_f32_e32 v127, v129, v127
	v_mov_b32_e32 v129, v153
	;; [unrolled: 4-line block ×4, first 2 shown]
	v_mul_f32_e32 v132, 0x3f575c64, v27
	v_fmac_f32_e32 v129, 0x3e903f40, v120
	v_mov_b32_e32 v130, v132
	v_add_f32_e32 v129, v21, v129
	v_fmac_f32_e32 v130, 0xbf0a6770, v121
	v_mul_f32_e32 v133, 0xbf27a4f4, v28
	v_add_f32_e32 v129, v130, v129
	v_mov_b32_e32 v130, v133
	v_mul_f32_e32 v137, 0x3f575c64, v22
	v_mul_f32_e32 v138, 0x3f575c64, v26
	v_fmac_f32_e32 v130, 0x3f4178ce, v122
	v_mul_f32_e32 v134, 0x3ed4b147, v29
	v_mul_f32_e32 v139, 0x3ed4b147, v23
	;; [unrolled: 1-line block ×3, first 2 shown]
	v_add_f32_e32 v129, v130, v129
	v_mov_b32_e32 v130, v134
	v_add_f32_e32 v111, v111, v138
	v_sub_f32_e32 v38, v137, v38
	v_mul_f32_e32 v141, 0xbe11bafb, v24
	v_mul_f32_e32 v142, 0xbe11bafb, v28
	v_fmac_f32_e32 v130, 0xbf68dda4, v123
	v_mul_f32_e32 v155, 0xbe11bafb, v37
	v_add_f32_e32 v111, v21, v111
	v_add_f32_e32 v112, v112, v140
	;; [unrolled: 1-line block ×3, first 2 shown]
	v_sub_f32_e32 v39, v139, v39
	v_mul_f32_e32 v143, 0xbf27a4f4, v25
	v_mul_f32_e32 v144, 0xbf27a4f4, v29
	v_add_f32_e32 v129, v130, v129
	v_mov_b32_e32 v130, v155
	v_add_f32_e32 v111, v112, v111
	v_add_f32_e32 v112, v113, v142
	v_add_f32_e32 v38, v39, v38
	v_sub_f32_e32 v39, v141, v46
	v_mul_f32_e32 v145, 0xbf75a155, v33
	v_mul_f32_e32 v146, 0xbf75a155, v37
	v_fmac_f32_e32 v130, 0x3f7d64f0, v126
	v_mul_f32_e32 v156, 0xbe903f40, v115
	v_add_f32_e32 v111, v112, v111
	v_add_f32_e32 v112, v114, v144
	;; [unrolled: 1-line block ×3, first 2 shown]
	v_sub_f32_e32 v39, v143, v47
	v_add_f32_e32 v130, v130, v129
	v_mov_b32_e32 v129, v156
	v_mul_f32_e32 v157, 0x3f0a6770, v116
	v_add_f32_e32 v111, v112, v111
	v_add_f32_e32 v112, v124, v146
	;; [unrolled: 1-line block ×3, first 2 shown]
	v_sub_f32_e32 v39, v145, v119
	v_fmac_f32_e32 v129, 0xbf75a155, v22
	v_mov_b32_e32 v158, v157
	v_fmac_f32_e32 v131, 0xbe903f40, v120
	v_add_f32_e32 v112, v112, v111
	v_add_f32_e32 v111, v39, v38
	;; [unrolled: 1-line block ×4, first 2 shown]
	v_fmac_f32_e32 v158, 0x3f575c64, v23
	v_add_f32_e32 v131, v21, v131
	v_fmac_f32_e32 v132, 0x3f0a6770, v121
	v_add_f32_e32 v38, v38, v98
	v_add_f32_e32 v129, v158, v129
	v_mul_f32_e32 v158, 0xbf4178ce, v117
	v_add_f32_e32 v131, v132, v131
	v_fmac_f32_e32 v133, 0xbf4178ce, v122
	v_fmac_f32_e32 v135, 0xbf7d64f0, v120
	v_add_f32_e32 v38, v38, v99
	v_mov_b32_e32 v159, v158
	v_add_f32_e32 v131, v133, v131
	v_fmac_f32_e32 v134, 0x3f68dda4, v123
	v_add_f32_e32 v135, v21, v135
	v_fmac_f32_e32 v136, 0x3e903f40, v121
	;; [unrolled: 2-line block ×5, first 2 shown]
	v_add_f32_e32 v38, v38, v101
	v_add_f32_e32 v129, v159, v129
	v_mul_f32_e32 v159, 0x3f68dda4, v118
	v_add_f32_e32 v132, v155, v131
	v_fma_f32 v131, v22, s16, -v156
	v_add_f32_e32 v135, v147, v135
	v_fmac_f32_e32 v148, 0xbf0a6770, v123
	v_add_f32_e32 v38, v38, v102
	v_mov_b32_e32 v160, v159
	v_add_f32_e32 v131, v20, v131
	v_fma_f32 v133, v23, s12, -v157
	v_add_f32_e32 v135, v148, v135
	v_fmac_f32_e32 v149, 0xbf4178ce, v126
	v_add_f32_e32 v38, v38, v103
	v_fmac_f32_e32 v160, 0x3ed4b147, v25
	v_add_f32_e32 v131, v133, v131
	v_fma_f32 v133, v24, s15, -v158
	v_add_f32_e32 v136, v149, v135
	v_fma_f32 v135, v22, s14, -v150
	v_add_f32_e32 v38, v38, v104
	v_add_f32_e32 v129, v160, v129
	v_mul_f32_e32 v160, 0xbf7d64f0, v125
	v_add_f32_e32 v131, v133, v131
	v_fma_f32 v133, v25, s13, -v159
	v_add_f32_e32 v135, v20, v135
	v_fma_f32 v147, v23, s16, -v151
	v_add_f32_e32 v38, v38, v105
	v_add_f32_e32 v131, v133, v131
	v_fma_f32 v133, v33, s14, -v160
	v_mul_f32_e32 v155, 0xbf4178ce, v120
	v_add_f32_e32 v135, v147, v135
	v_fma_f32 v147, v24, s13, -v152
	v_add_f32_e32 v39, v38, v107
	v_add_f32_e32 v38, v20, v106
	;; [unrolled: 1-line block ×3, first 2 shown]
	v_mov_b32_e32 v133, v155
	v_mul_f32_e32 v156, 0x3f7d64f0, v121
	v_add_f32_e32 v135, v147, v135
	v_fma_f32 v147, v25, s12, -v153
	v_add_f32_e32 v38, v38, v108
	v_fmac_f32_e32 v133, 0xbf27a4f4, v26
	v_mov_b32_e32 v134, v156
	v_add_f32_e32 v135, v147, v135
	v_fma_f32 v147, v33, s15, -v154
	v_add_f32_e32 v38, v38, v109
	v_add_f32_e32 v133, v21, v133
	v_fmac_f32_e32 v134, 0xbe11bafb, v27
	v_mul_f32_e32 v157, 0xbf0a6770, v122
	v_add_f32_e32 v135, v147, v135
	v_mul_f32_e32 v147, 0xbf68dda4, v120
	v_add_f32_e32 v38, v38, v110
	v_add_f32_e32 v133, v134, v133
	v_mov_b32_e32 v134, v157
	v_mov_b32_e32 v120, v147
	v_mul_f32_e32 v148, 0xbf4178ce, v121
	v_add_f32_e32 v30, v38, v30
	v_fmac_f32_e32 v134, 0x3f575c64, v28
	v_mul_f32_e32 v158, 0xbe903f40, v123
	v_fmac_f32_e32 v120, 0x3ed4b147, v26
	v_mov_b32_e32 v121, v148
	v_add_f32_e32 v30, v30, v31
	v_add_f32_e32 v133, v134, v133
	v_mov_b32_e32 v134, v158
	v_add_f32_e32 v120, v21, v120
	v_fmac_f32_e32 v121, 0xbf27a4f4, v27
	v_mul_f32_e32 v122, 0x3e903f40, v122
	v_add_f32_e32 v30, v30, v32
	v_fmac_f32_e32 v134, 0xbf75a155, v29
	v_mul_f32_e32 v159, 0x3f68dda4, v126
	v_add_f32_e32 v120, v121, v120
	v_mov_b32_e32 v121, v122
	v_add_f32_e32 v30, v30, v34
	v_mov_b32_e32 v161, v160
	;; [unrolled: 2-line block ×3, first 2 shown]
	v_fmac_f32_e32 v121, 0xbf75a155, v28
	v_mul_f32_e32 v123, 0x3f7d64f0, v123
	v_add_f32_e32 v30, v30, v35
	v_fmac_f32_e32 v161, 0xbe11bafb, v33
	v_fmac_f32_e32 v134, 0x3ed4b147, v37
	v_mul_f32_e32 v160, 0xbf4178ce, v115
	v_add_f32_e32 v120, v121, v120
	v_mov_b32_e32 v121, v123
	v_add_f32_e32 v38, v30, v36
	v_fma_f32 v30, v26, s15, -v155
	v_add_f32_e32 v129, v161, v129
	v_add_f32_e32 v134, v134, v133
	v_fma_f32 v133, v22, s15, -v160
	v_mul_f32_e32 v161, 0x3f7d64f0, v116
	v_fmac_f32_e32 v121, 0xbe11bafb, v29
	v_mul_f32_e32 v126, 0x3f0a6770, v126
	v_add_f32_e32 v30, v21, v30
	v_fma_f32 v31, v27, s14, -v156
	v_add_f32_e32 v133, v20, v133
	v_fma_f32 v162, v23, s14, -v161
	v_add_f32_e32 v120, v121, v120
	v_mov_b32_e32 v121, v126
	v_add_f32_e32 v30, v31, v30
	v_fma_f32 v31, v28, s12, -v157
	v_add_f32_e32 v133, v162, v133
	v_mul_f32_e32 v162, 0xbf0a6770, v117
	v_fmac_f32_e32 v121, 0x3f575c64, v37
	v_mul_f32_e32 v115, 0xbf68dda4, v115
	v_add_f32_e32 v30, v31, v30
	v_fma_f32 v31, v29, s16, -v158
	v_fma_f32 v163, v24, s12, -v162
	v_add_f32_e32 v121, v121, v120
	v_fma_f32 v120, v22, s13, -v115
	v_mul_f32_e32 v116, 0xbf4178ce, v116
	v_add_f32_e32 v30, v31, v30
	v_fma_f32 v31, v37, s13, -v159
	v_fmac_f32_e32 v160, 0xbf27a4f4, v22
	v_fma_f32 v26, v26, s13, -v147
	v_fmac_f32_e32 v115, 0x3ed4b147, v22
	v_add_f32_e32 v133, v163, v133
	v_mul_f32_e32 v163, 0xbe903f40, v118
	v_add_f32_e32 v120, v20, v120
	v_fma_f32 v149, v23, s15, -v116
	v_mul_f32_e32 v117, 0x3e903f40, v117
	v_add_f32_e32 v31, v31, v30
	v_add_f32_e32 v30, v20, v160
	v_fmac_f32_e32 v161, 0xbe11bafb, v23
	v_add_f32_e32 v21, v21, v26
	v_fma_f32 v26, v27, s15, -v148
	v_add_f32_e32 v20, v20, v115
	v_fmac_f32_e32 v116, 0xbf27a4f4, v23
	v_fma_f32 v164, v25, s16, -v163
	v_add_f32_e32 v120, v149, v120
	v_fma_f32 v149, v24, s16, -v117
	v_mul_f32_e32 v118, 0x3f7d64f0, v118
	v_add_f32_e32 v30, v161, v30
	v_fmac_f32_e32 v162, 0x3f575c64, v24
	v_add_f32_e32 v21, v26, v21
	v_fma_f32 v26, v28, s16, -v122
	v_add_f32_e32 v20, v116, v20
	v_fmac_f32_e32 v117, 0xbf75a155, v24
	v_mul_u32_u24_e32 v22, 0xb0, v83
	v_add_f32_e32 v133, v164, v133
	v_mul_f32_e32 v164, 0x3f68dda4, v125
	v_add_f32_e32 v120, v149, v120
	v_fma_f32 v149, v25, s14, -v118
	v_mul_f32_e32 v125, 0x3f0a6770, v125
	v_add_f32_e32 v30, v162, v30
	v_fmac_f32_e32 v163, 0xbf75a155, v25
	v_add_f32_e32 v21, v26, v21
	v_fma_f32 v26, v29, s14, -v123
	v_add_f32_e32 v20, v117, v20
	v_fmac_f32_e32 v118, 0xbe11bafb, v25
	v_or_b32_e32 v22, v22, v82
	v_fma_f32 v165, v33, s13, -v164
	v_add_f32_e32 v120, v149, v120
	v_fma_f32 v149, v33, s12, -v125
	v_add_f32_e32 v30, v163, v30
	v_fmac_f32_e32 v164, 0x3ed4b147, v33
	v_add_f32_e32 v21, v26, v21
	v_fma_f32 v26, v37, s12, -v126
	v_add_f32_e32 v20, v118, v20
	v_fmac_f32_e32 v125, 0x3f575c64, v33
	v_lshl_add_u32 v22, v22, 3, v81
	v_add_f32_e32 v133, v165, v133
	v_add_f32_e32 v120, v149, v120
	;; [unrolled: 1-line block ×5, first 2 shown]
	ds_write2_b64 v22, v[38:39], v[111:112] offset1:16
	ds_write2_b64 v22, v[120:121], v[135:136] offset0:32 offset1:48
	ds_write2_b64 v22, v[133:134], v[131:132] offset0:64 offset1:80
	ds_write2_b64 v22, v[129:130], v[30:31] offset0:96 offset1:112
	ds_write2_b64 v22, v[127:128], v[20:21] offset0:128 offset1:144
	ds_write_b64 v22, v[77:78] offset:1280
.LBB0_5:
	s_or_b64 exec, exec, s[6:7]
	v_lshlrev_b32_e32 v24, 5, v79
	s_waitcnt lgkmcnt(0)
	s_barrier
	global_load_dwordx4 v[28:31], v24, s[2:3] offset:1392
	global_load_dwordx4 v[20:23], v24, s[2:3] offset:1408
	v_lshlrev_b32_e32 v36, 5, v96
	global_load_dwordx4 v[32:35], v36, s[2:3] offset:1392
	global_load_dwordx4 v[24:27], v36, s[2:3] offset:1408
	v_add_u32_e32 v36, 0x400, v80
	v_add_u32_e32 v98, 0x800, v80
	ds_read2_b64 v[103:106], v36 offset0:48 offset1:136
	ds_read2_b64 v[99:102], v80 offset1:88
	v_add_u32_e32 v97, 0x1000, v80
	v_add_u32_e32 v37, 0x1400, v80
	ds_read2_b64 v[107:110], v98 offset0:96 offset1:184
	ds_read2_b64 v[111:114], v97 offset0:16 offset1:104
	;; [unrolled: 1-line block ×3, first 2 shown]
	v_lshlrev_b32_e32 v38, 3, v79
	v_mov_b32_e32 v39, s1
	v_add_co_u32_e64 v119, s[0:1], s0, v38
	v_addc_co_u32_e64 v120, s[0:1], 0, v39, s[0:1]
	s_movk_i32 s0, 0x1b80
	s_movk_i32 s2, 0x1000
	s_waitcnt vmcnt(3) lgkmcnt(4)
	v_mul_f32_e32 v38, v104, v29
	s_waitcnt lgkmcnt(2)
	v_mul_f32_e32 v39, v108, v31
	v_mul_f32_e32 v121, v107, v31
	s_waitcnt vmcnt(2) lgkmcnt(1)
	v_mul_f32_e32 v46, v112, v21
	s_waitcnt lgkmcnt(0)
	v_mul_f32_e32 v47, v116, v23
	v_fma_f32 v132, v103, v28, -v38
	v_fma_f32 v107, v107, v30, -v39
	v_fmac_f32_e32 v121, v108, v30
	v_fma_f32 v108, v111, v20, -v46
	v_mul_f32_e32 v96, v103, v29
	v_mul_f32_e32 v123, v115, v23
	s_waitcnt vmcnt(0)
	v_mul_f32_e32 v128, v114, v25
	v_fma_f32 v47, v115, v22, -v47
	v_add_f32_e32 v38, v99, v132
	v_add_f32_e32 v39, v107, v108
	v_mul_f32_e32 v122, v111, v21
	v_mul_f32_e32 v129, v113, v25
	v_fmac_f32_e32 v96, v104, v28
	v_fmac_f32_e32 v123, v116, v22
	v_fma_f32 v116, v113, v24, -v128
	v_sub_f32_e32 v46, v132, v107
	v_sub_f32_e32 v103, v47, v108
	v_add_f32_e32 v113, v38, v107
	v_fma_f32 v38, -0.5, v39, v99
	v_mul_f32_e32 v124, v106, v33
	v_mul_f32_e32 v125, v105, v33
	;; [unrolled: 1-line block ×4, first 2 shown]
	v_fmac_f32_e32 v122, v112, v20
	v_sub_f32_e32 v104, v96, v123
	v_add_f32_e32 v39, v46, v103
	v_mov_b32_e32 v103, v38
	v_fma_f32 v112, v105, v32, -v124
	v_fmac_f32_e32 v125, v106, v32
	v_fma_f32 v115, v109, v34, -v126
	v_fmac_f32_e32 v127, v110, v34
	v_sub_f32_e32 v106, v121, v122
	v_add_f32_e32 v105, v132, v47
	v_sub_f32_e32 v109, v107, v132
	v_sub_f32_e32 v110, v108, v47
	v_add_f32_e32 v111, v100, v96
	v_fmac_f32_e32 v38, 0xbf737871, v104
	v_fmac_f32_e32 v103, 0x3f737871, v104
	v_fma_f32 v46, -0.5, v105, v99
	v_add_f32_e32 v109, v109, v110
	v_add_f32_e32 v110, v111, v121
	v_fmac_f32_e32 v38, 0xbf167918, v106
	v_fmac_f32_e32 v103, 0x3f167918, v106
	v_mov_b32_e32 v99, v46
	v_fmac_f32_e32 v38, 0x3e9e377a, v39
	v_fmac_f32_e32 v103, 0x3e9e377a, v39
	v_add_f32_e32 v39, v110, v122
	v_fmac_f32_e32 v46, 0x3f737871, v106
	v_fmac_f32_e32 v99, 0xbf737871, v106
	v_add_f32_e32 v106, v39, v123
	v_add_f32_e32 v39, v121, v122
	v_fmac_f32_e32 v46, 0xbf167918, v104
	v_fmac_f32_e32 v99, 0x3f167918, v104
	v_fma_f32 v39, -0.5, v39, v100
	v_add_f32_e32 v105, v113, v108
	v_fmac_f32_e32 v46, 0x3e9e377a, v109
	v_fmac_f32_e32 v99, 0x3e9e377a, v109
	v_sub_f32_e32 v109, v132, v47
	v_mov_b32_e32 v104, v39
	v_add_f32_e32 v105, v105, v47
	v_fmac_f32_e32 v104, 0xbf737871, v109
	v_sub_f32_e32 v107, v107, v108
	v_sub_f32_e32 v47, v96, v121
	;; [unrolled: 1-line block ×3, first 2 shown]
	v_fmac_f32_e32 v39, 0x3f737871, v109
	v_fmac_f32_e32 v104, 0xbf167918, v107
	v_add_f32_e32 v47, v47, v108
	v_fmac_f32_e32 v39, 0x3f167918, v107
	v_fmac_f32_e32 v104, 0x3e9e377a, v47
	;; [unrolled: 1-line block ×3, first 2 shown]
	v_add_f32_e32 v47, v96, v123
	v_fma_f32 v47, -0.5, v47, v100
	v_mov_b32_e32 v100, v47
	v_fmac_f32_e32 v100, 0x3f737871, v107
	v_sub_f32_e32 v96, v121, v96
	v_sub_f32_e32 v108, v122, v123
	v_fmac_f32_e32 v47, 0xbf737871, v107
	v_fmac_f32_e32 v100, 0xbf167918, v109
	v_add_f32_e32 v96, v96, v108
	v_fmac_f32_e32 v47, 0x3f167918, v109
	v_fmac_f32_e32 v100, 0x3e9e377a, v96
	;; [unrolled: 1-line block ×3, first 2 shown]
	v_add_f32_e32 v96, v101, v112
	v_mul_f32_e32 v130, v118, v27
	v_add_f32_e32 v96, v96, v115
	v_fmac_f32_e32 v129, v114, v24
	v_fma_f32 v114, v117, v26, -v130
	v_add_f32_e32 v96, v96, v116
	v_mul_f32_e32 v131, v117, v27
	v_add_f32_e32 v107, v96, v114
	v_add_f32_e32 v96, v115, v116
	v_fmac_f32_e32 v131, v118, v26
	v_fma_f32 v109, -0.5, v96, v101
	v_sub_f32_e32 v96, v125, v131
	v_mov_b32_e32 v111, v109
	v_fmac_f32_e32 v111, 0x3f737871, v96
	v_sub_f32_e32 v108, v127, v129
	v_sub_f32_e32 v110, v112, v115
	;; [unrolled: 1-line block ×3, first 2 shown]
	v_fmac_f32_e32 v109, 0xbf737871, v96
	v_fmac_f32_e32 v111, 0x3f167918, v108
	v_add_f32_e32 v110, v110, v113
	v_fmac_f32_e32 v109, 0xbf167918, v108
	v_fmac_f32_e32 v111, 0x3e9e377a, v110
	;; [unrolled: 1-line block ×3, first 2 shown]
	v_add_f32_e32 v110, v112, v114
	v_fma_f32 v101, -0.5, v110, v101
	v_mov_b32_e32 v113, v101
	v_fmac_f32_e32 v113, 0xbf737871, v108
	v_fmac_f32_e32 v101, 0x3f737871, v108
	;; [unrolled: 1-line block ×4, first 2 shown]
	v_add_f32_e32 v96, v102, v125
	v_add_f32_e32 v96, v96, v127
	v_sub_f32_e32 v110, v115, v112
	v_sub_f32_e32 v117, v116, v114
	v_add_f32_e32 v96, v96, v129
	v_add_f32_e32 v110, v110, v117
	;; [unrolled: 1-line block ×4, first 2 shown]
	v_fmac_f32_e32 v113, 0x3e9e377a, v110
	v_fmac_f32_e32 v101, 0x3e9e377a, v110
	v_fma_f32 v110, -0.5, v96, v102
	v_sub_f32_e32 v96, v112, v114
	v_mov_b32_e32 v112, v110
	v_fmac_f32_e32 v112, 0xbf737871, v96
	v_sub_f32_e32 v115, v115, v116
	v_sub_f32_e32 v114, v125, v127
	;; [unrolled: 1-line block ×3, first 2 shown]
	v_fmac_f32_e32 v110, 0x3f737871, v96
	v_fmac_f32_e32 v112, 0xbf167918, v115
	v_add_f32_e32 v114, v114, v116
	v_fmac_f32_e32 v110, 0x3f167918, v115
	v_fmac_f32_e32 v112, 0x3e9e377a, v114
	;; [unrolled: 1-line block ×3, first 2 shown]
	v_add_f32_e32 v114, v125, v131
	v_fmac_f32_e32 v102, -0.5, v114
	v_mov_b32_e32 v114, v102
	v_fmac_f32_e32 v114, 0x3f737871, v115
	v_fmac_f32_e32 v102, 0xbf737871, v115
	;; [unrolled: 1-line block ×3, first 2 shown]
	v_sub_f32_e32 v116, v127, v125
	v_sub_f32_e32 v117, v129, v131
	v_fmac_f32_e32 v102, 0x3f167918, v96
	v_lshl_add_u32 v96, v79, 3, v81
	v_add_f32_e32 v116, v116, v117
	ds_write2_b64 v36, v[103:104], v[99:100] offset0:48 offset1:224
	v_add_u32_e32 v99, 0x1000, v96
	v_fmac_f32_e32 v114, 0x3e9e377a, v116
	v_fmac_f32_e32 v102, 0x3e9e377a, v116
	ds_write2_b64 v99, v[46:47], v[38:39] offset0:16 offset1:192
	ds_write2_b64 v80, v[105:106], v[107:108] offset1:88
	ds_write2_b64 v98, v[111:112], v[113:114] offset0:8 offset1:184
	v_add_u32_e32 v38, 0x1200, v80
	ds_write2_b64 v38, v[101:102], v[109:110] offset0:40 offset1:216
	v_add_co_u32_e64 v38, s[0:1], s0, v119
	v_addc_co_u32_e64 v39, s[0:1], 0, v120, s[0:1]
	v_add_co_u32_e64 v46, s[0:1], s2, v119
	v_addc_co_u32_e64 v47, s[0:1], 0, v120, s[0:1]
	s_waitcnt lgkmcnt(0)
	s_barrier
	global_load_dwordx2 v[46:47], v[46:47], off offset:2944
	s_movk_i32 s0, 0x2000
	v_add_co_u32_e64 v99, s[0:1], s0, v119
	v_addc_co_u32_e64 v100, s[0:1], 0, v120, s[0:1]
	global_load_dwordx2 v[109:110], v[99:100], off offset:3072
	global_load_dwordx2 v[111:112], v[99:100], off offset:3776
	;; [unrolled: 1-line block ×6, first 2 shown]
	s_movk_i32 s0, 0x3000
	v_add_co_u32_e64 v99, s[0:1], s0, v119
	v_addc_co_u32_e64 v100, s[0:1], 0, v120, s[0:1]
	global_load_dwordx2 v[119:120], v[99:100], off offset:384
	global_load_dwordx2 v[121:122], v[38:39], off offset:2816
	global_load_dwordx2 v[123:124], v[99:100], off offset:1088
	ds_read2_b64 v[99:102], v80 offset1:88
	ds_read2_b64 v[103:106], v98 offset0:96 offset1:184
	s_waitcnt vmcnt(9) lgkmcnt(1)
	v_mul_f32_e32 v38, v100, v47
	v_mul_f32_e32 v39, v99, v47
	v_fma_f32 v38, v99, v46, -v38
	v_fmac_f32_e32 v39, v100, v46
	s_waitcnt vmcnt(6) lgkmcnt(0)
	v_mul_f32_e32 v46, v106, v108
	v_mul_f32_e32 v47, v105, v108
	s_waitcnt vmcnt(5)
	v_mul_f32_e32 v99, v102, v114
	v_mul_f32_e32 v100, v101, v114
	v_fma_f32 v46, v105, v107, -v46
	v_fmac_f32_e32 v47, v106, v107
	v_fma_f32 v99, v101, v113, -v99
	ds_read2_b64 v[105:108], v97 offset0:16 offset1:104
	v_fmac_f32_e32 v100, v102, v113
	ds_write2_b64 v80, v[38:39], v[99:100] offset1:88
	ds_read2_b64 v[99:102], v36 offset0:48 offset1:136
	s_waitcnt lgkmcnt(2)
	v_mul_f32_e32 v38, v106, v110
	v_fma_f32 v38, v105, v109, -v38
	v_mul_f32_e32 v39, v105, v110
	s_waitcnt vmcnt(4) lgkmcnt(0)
	v_mul_f32_e32 v105, v100, v116
	v_mul_f32_e32 v110, v99, v116
	v_fmac_f32_e32 v39, v106, v109
	v_fma_f32 v109, v99, v115, -v105
	v_fmac_f32_e32 v110, v100, v115
	v_mul_f32_e32 v99, v108, v112
	v_mul_f32_e32 v100, v107, v112
	v_fma_f32 v99, v107, v111, -v99
	v_fmac_f32_e32 v100, v108, v111
	ds_read2_b64 v[105:108], v37 offset0:64 offset1:152
	ds_write2_b64 v97, v[38:39], v[99:100] offset0:16 offset1:104
	s_waitcnt vmcnt(3)
	v_mul_f32_e32 v38, v102, v118
	v_mul_f32_e32 v39, v101, v118
	s_waitcnt vmcnt(1)
	v_mul_f32_e32 v99, v104, v122
	v_mul_f32_e32 v100, v103, v122
	v_fma_f32 v38, v101, v117, -v38
	v_fmac_f32_e32 v39, v102, v117
	v_fma_f32 v99, v103, v121, -v99
	v_fmac_f32_e32 v100, v104, v121
	ds_write2_b64 v36, v[109:110], v[38:39] offset0:48 offset1:136
	s_waitcnt lgkmcnt(2)
	v_mul_f32_e32 v38, v106, v120
	v_mul_f32_e32 v39, v105, v120
	ds_write2_b64 v98, v[99:100], v[46:47] offset0:96 offset1:184
	s_waitcnt vmcnt(0)
	v_mul_f32_e32 v46, v108, v124
	v_mul_f32_e32 v47, v107, v124
	v_fma_f32 v38, v105, v119, -v38
	v_fmac_f32_e32 v39, v106, v119
	v_fma_f32 v46, v107, v123, -v46
	v_fmac_f32_e32 v47, v108, v123
	ds_write2_b64 v37, v[38:39], v[46:47] offset0:64 offset1:152
	s_waitcnt lgkmcnt(0)
	s_barrier
	ds_read2_b64 v[99:102], v80 offset1:88
	ds_read2_b64 v[103:106], v98 offset0:96 offset1:184
	ds_read2_b64 v[107:110], v97 offset0:16 offset1:104
	;; [unrolled: 1-line block ×4, first 2 shown]
	s_waitcnt lgkmcnt(0)
	v_sub_f32_e32 v121, v99, v105
	v_sub_f32_e32 v107, v101, v107
	;; [unrolled: 1-line block ×4, first 2 shown]
	v_fma_f32 v105, v101, 2.0, -v107
	v_fma_f32 v106, v102, 2.0, -v108
	v_sub_f32_e32 v101, v111, v109
	v_sub_f32_e32 v102, v112, v110
	v_fma_f32 v119, v99, 2.0, -v121
	v_fma_f32 v120, v100, 2.0, -v122
	;; [unrolled: 1-line block ×4, first 2 shown]
	v_sub_f32_e32 v111, v113, v115
	v_sub_f32_e32 v112, v114, v116
	;; [unrolled: 1-line block ×4, first 2 shown]
	v_fma_f32 v109, v113, 2.0, -v111
	v_fma_f32 v110, v114, 2.0, -v112
	;; [unrolled: 1-line block ×4, first 2 shown]
	s_barrier
	ds_write_b128 v48, v[119:122]
	ds_write_b128 v49, v[105:108]
	ds_write_b128 v50, v[99:102]
	ds_write_b128 v51, v[109:112]
	ds_write_b128 v52, v[113:116]
	s_waitcnt lgkmcnt(0)
	s_barrier
	ds_read2_b64 v[46:49], v98 offset0:96 offset1:184
	ds_read2_b64 v[99:102], v80 offset1:88
	ds_read2_b64 v[103:106], v97 offset0:16 offset1:104
	ds_read2_b64 v[107:110], v36 offset0:48 offset1:136
	;; [unrolled: 1-line block ×3, first 2 shown]
	s_waitcnt lgkmcnt(4)
	v_mul_f32_e32 v39, v41, v48
	v_mul_f32_e32 v38, v41, v49
	v_fma_f32 v39, v40, v49, -v39
	s_waitcnt lgkmcnt(2)
	v_mul_f32_e32 v49, v41, v103
	v_fmac_f32_e32 v38, v40, v48
	v_mul_f32_e32 v48, v41, v104
	v_fma_f32 v49, v40, v104, -v49
	v_mul_f32_e32 v52, v41, v106
	v_mul_f32_e32 v50, v41, v105
	s_waitcnt lgkmcnt(0)
	v_mul_f32_e32 v104, v41, v112
	v_fmac_f32_e32 v48, v40, v103
	v_fmac_f32_e32 v52, v40, v105
	v_fma_f32 v103, v40, v106, -v50
	v_fmac_f32_e32 v104, v40, v111
	v_mul_f32_e32 v50, v41, v111
	v_mul_f32_e32 v111, v41, v114
	;; [unrolled: 1-line block ×3, first 2 shown]
	v_sub_f32_e32 v38, v99, v38
	v_sub_f32_e32 v39, v100, v39
	v_fma_f32 v105, v40, v112, -v50
	v_fmac_f32_e32 v111, v40, v113
	v_fma_f32 v112, v40, v114, -v41
	v_fma_f32 v40, v99, 2.0, -v38
	v_fma_f32 v41, v100, 2.0, -v39
	v_sub_f32_e32 v48, v101, v48
	v_sub_f32_e32 v49, v102, v49
	;; [unrolled: 1-line block ×4, first 2 shown]
	v_fma_f32 v50, v101, 2.0, -v48
	v_fma_f32 v51, v102, 2.0, -v49
	;; [unrolled: 1-line block ×4, first 2 shown]
	v_sub_f32_e32 v103, v109, v104
	v_sub_f32_e32 v104, v110, v105
	;; [unrolled: 1-line block ×4, first 2 shown]
	v_fma_f32 v105, v109, 2.0, -v103
	v_fma_f32 v106, v110, 2.0, -v104
	;; [unrolled: 1-line block ×4, first 2 shown]
	s_barrier
	ds_write2_b64 v53, v[40:41], v[38:39] offset1:2
	ds_write2_b64 v54, v[50:51], v[48:49] offset1:2
	ds_write2_b64 v55, v[101:102], v[99:100] offset1:2
	ds_write2_b64 v84, v[105:106], v[103:104] offset1:2
	ds_write2_b64 v85, v[46:47], v[107:108] offset1:2
	s_waitcnt lgkmcnt(0)
	s_barrier
	ds_read2_b64 v[38:41], v98 offset0:96 offset1:184
	ds_read2_b64 v[46:49], v80 offset1:88
	ds_read2_b64 v[50:53], v97 offset0:16 offset1:104
	ds_read2_b64 v[99:102], v36 offset0:48 offset1:136
	;; [unrolled: 1-line block ×3, first 2 shown]
	s_waitcnt lgkmcnt(4)
	v_mul_f32_e32 v54, v43, v41
	v_fmac_f32_e32 v54, v42, v40
	v_mul_f32_e32 v40, v43, v40
	v_fma_f32 v41, v42, v41, -v40
	s_waitcnt lgkmcnt(2)
	v_mul_f32_e32 v55, v43, v51
	v_mul_f32_e32 v40, v43, v50
	v_fmac_f32_e32 v55, v42, v50
	v_fma_f32 v50, v42, v51, -v40
	v_mul_f32_e32 v51, v43, v53
	v_mul_f32_e32 v40, v43, v52
	v_fmac_f32_e32 v51, v42, v52
	v_fma_f32 v52, v42, v53, -v40
	s_waitcnt lgkmcnt(0)
	v_mul_f32_e32 v84, v43, v104
	v_mul_f32_e32 v40, v43, v103
	v_fmac_f32_e32 v84, v42, v103
	v_fma_f32 v85, v42, v104, -v40
	v_mul_f32_e32 v103, v43, v106
	v_mul_f32_e32 v40, v43, v105
	v_sub_f32_e32 v41, v47, v41
	v_fmac_f32_e32 v103, v42, v105
	v_fma_f32 v104, v42, v106, -v40
	v_sub_f32_e32 v40, v46, v54
	v_fma_f32 v43, v47, 2.0, -v41
	v_sub_f32_e32 v47, v49, v50
	v_sub_f32_e32 v50, v99, v51
	;; [unrolled: 1-line block ×3, first 2 shown]
	v_fma_f32 v42, v46, 2.0, -v40
	v_sub_f32_e32 v46, v48, v55
	v_fma_f32 v52, v99, 2.0, -v50
	v_fma_f32 v53, v100, 2.0, -v51
	v_sub_f32_e32 v54, v101, v84
	v_sub_f32_e32 v55, v102, v85
	;; [unrolled: 1-line block ×4, first 2 shown]
	v_fma_f32 v48, v48, 2.0, -v46
	v_fma_f32 v49, v49, 2.0, -v47
	;; [unrolled: 1-line block ×6, first 2 shown]
	s_barrier
	ds_write2_b64 v86, v[42:43], v[40:41] offset1:4
	ds_write2_b64 v87, v[48:49], v[46:47] offset1:4
	;; [unrolled: 1-line block ×5, first 2 shown]
	s_waitcnt lgkmcnt(0)
	s_barrier
	ds_read2_b64 v[52:55], v98 offset0:96 offset1:184
	ds_read2_b64 v[40:43], v80 offset1:88
	ds_read2_b64 v[46:49], v97 offset0:16 offset1:104
	ds_read2_b64 v[84:87], v36 offset0:48 offset1:136
	;; [unrolled: 1-line block ×3, first 2 shown]
	s_waitcnt lgkmcnt(4)
	v_mul_f32_e32 v50, v45, v55
	v_fmac_f32_e32 v50, v44, v54
	v_mul_f32_e32 v51, v45, v54
	s_waitcnt lgkmcnt(2)
	v_mul_f32_e32 v54, v45, v47
	v_fmac_f32_e32 v54, v44, v46
	v_mul_f32_e32 v46, v45, v46
	s_waitcnt lgkmcnt(0)
	v_mul_f32_e32 v88, v45, v37
	v_fma_f32 v46, v44, v47, -v46
	v_mul_f32_e32 v47, v45, v49
	v_fmac_f32_e32 v88, v44, v36
	v_mul_f32_e32 v36, v45, v36
	v_fma_f32 v51, v44, v55, -v51
	v_fmac_f32_e32 v47, v44, v48
	v_mul_f32_e32 v48, v45, v48
	v_fma_f32 v89, v44, v37, -v36
	v_mul_f32_e32 v90, v45, v39
	v_mul_f32_e32 v36, v45, v38
	v_fma_f32 v55, v44, v49, -v48
	v_fmac_f32_e32 v90, v44, v38
	v_fma_f32 v99, v44, v39, -v36
	v_sub_f32_e32 v38, v40, v50
	v_sub_f32_e32 v39, v41, v51
	;; [unrolled: 1-line block ×4, first 2 shown]
	v_fma_f32 v48, v42, 2.0, -v50
	v_fma_f32 v49, v43, 2.0, -v51
	v_sub_f32_e32 v42, v84, v47
	v_sub_f32_e32 v43, v85, v55
	;; [unrolled: 1-line block ×6, first 2 shown]
	v_fma_f32 v36, v40, 2.0, -v38
	v_fma_f32 v37, v41, 2.0, -v39
	v_fma_f32 v40, v84, 2.0, -v42
	v_fma_f32 v41, v85, 2.0, -v43
	v_fma_f32 v44, v86, 2.0, -v46
	v_fma_f32 v45, v87, 2.0, -v47
	v_fma_f32 v52, v52, 2.0, -v54
	v_fma_f32 v53, v53, 2.0, -v55
	s_barrier
	ds_write2_b64 v91, v[36:37], v[38:39] offset1:8
	ds_write2_b64 v92, v[48:49], v[50:51] offset1:8
	;; [unrolled: 1-line block ×5, first 2 shown]
	s_waitcnt lgkmcnt(0)
	s_barrier
	s_and_saveexec_b64 s[0:1], vcc
	s_cbranch_execz .LBB0_7
; %bb.6:
	v_add_u32_e32 v44, 0xc00, v80
	ds_read2_b64 v[36:39], v80 offset1:80
	ds_read2_b64 v[48:51], v80 offset0:160 offset1:240
	ds_read2_b64 v[40:43], v98 offset0:64 offset1:144
	;; [unrolled: 1-line block ×4, first 2 shown]
	ds_read_b64 v[77:78], v80 offset:6400
.LBB0_7:
	s_or_b64 exec, exec, s[0:1]
	v_add_u32_e32 v84, 0x2c0, v80
	s_waitcnt lgkmcnt(0)
	s_barrier
	s_and_saveexec_b64 s[0:1], vcc
	s_cbranch_execz .LBB0_9
; %bb.8:
	v_mul_f32_e32 v85, v13, v39
	v_mul_f32_e32 v86, v19, v78
	;; [unrolled: 1-line block ×4, first 2 shown]
	v_fmac_f32_e32 v85, v12, v38
	v_fmac_f32_e32 v86, v18, v77
	v_fma_f32 v18, v18, v78, -v19
	v_fma_f32 v19, v12, v39, -v13
	v_mul_f32_e32 v38, v15, v49
	v_mul_f32_e32 v39, v17, v55
	v_sub_f32_e32 v87, v85, v86
	v_fmac_f32_e32 v38, v14, v48
	v_fmac_f32_e32 v39, v16, v54
	v_mul_f32_e32 v88, 0xbf7d64f0, v87
	v_sub_f32_e32 v77, v38, v39
	v_mul_f32_e32 v17, v17, v54
	v_mul_f32_e32 v15, v15, v48
	v_add_f32_e32 v12, v18, v19
	v_mov_b32_e32 v13, v88
	v_mul_f32_e32 v78, 0x3e903f40, v77
	v_fma_f32 v16, v16, v55, -v17
	v_fma_f32 v14, v14, v49, -v15
	v_fmac_f32_e32 v13, 0xbe11bafb, v12
	v_add_f32_e32 v15, v16, v14
	v_mov_b32_e32 v17, v78
	v_add_f32_e32 v13, v37, v13
	v_fmac_f32_e32 v17, 0xbf75a155, v15
	v_add_f32_e32 v13, v17, v13
	v_mul_f32_e32 v17, v5, v51
	v_mul_f32_e32 v48, v11, v53
	;; [unrolled: 1-line block ×3, first 2 shown]
	v_fmac_f32_e32 v17, v4, v50
	v_fmac_f32_e32 v48, v10, v52
	v_mul_f32_e32 v11, v11, v52
	v_fma_f32 v50, v4, v51, -v5
	v_mul_f32_e32 v55, v9, v47
	v_mul_f32_e32 v5, v9, v46
	v_sub_f32_e32 v49, v17, v48
	v_fma_f32 v52, v10, v53, -v11
	v_mul_f32_e32 v53, v7, v41
	v_fmac_f32_e32 v55, v8, v46
	v_fma_f32 v46, v8, v47, -v5
	v_mul_f32_e32 v5, v7, v40
	v_mul_f32_e32 v54, 0x3f68dda4, v49
	v_fmac_f32_e32 v53, v6, v40
	v_fma_f32 v40, v6, v41, -v5
	v_mul_f32_e32 v41, v1, v43
	v_mul_f32_e32 v47, v3, v45
	v_add_f32_e32 v51, v52, v50
	v_mov_b32_e32 v4, v54
	v_sub_f32_e32 v89, v53, v55
	v_fmac_f32_e32 v41, v0, v42
	v_fmac_f32_e32 v47, v2, v44
	;; [unrolled: 1-line block ×3, first 2 shown]
	v_mul_f32_e32 v10, 0xbf0a6770, v89
	v_sub_f32_e32 v90, v41, v47
	v_mul_f32_e32 v3, v3, v44
	v_mul_f32_e32 v1, v1, v42
	v_add_f32_e32 v4, v4, v13
	v_add_f32_e32 v13, v46, v40
	v_mov_b32_e32 v5, v10
	v_mul_f32_e32 v8, 0xbf4178ce, v90
	v_fma_f32 v44, v2, v45, -v3
	v_fma_f32 v42, v0, v43, -v1
	v_fmac_f32_e32 v5, 0x3f575c64, v13
	v_add_f32_e32 v43, v44, v42
	v_mov_b32_e32 v0, v8
	v_sub_f32_e32 v91, v19, v18
	s_mov_b32 s2, 0xbe11bafb
	v_add_f32_e32 v4, v5, v4
	v_fmac_f32_e32 v0, 0xbf27a4f4, v43
	v_add_f32_e32 v45, v86, v85
	v_mul_f32_e32 v11, 0xbf7d64f0, v91
	v_sub_f32_e32 v93, v14, v16
	s_mov_b32 s3, 0xbf75a155
	v_add_f32_e32 v1, v0, v4
	v_fma_f32 v0, v45, s2, -v11
	v_add_f32_e32 v92, v39, v38
	v_mul_f32_e32 v94, 0x3e903f40, v93
	v_sub_f32_e32 v97, v50, v52
	s_mov_b32 s6, 0x3ed4b147
	v_add_f32_e32 v0, v36, v0
	v_fma_f32 v2, v92, s3, -v94
	;; [unrolled: 6-line block ×4, first 2 shown]
	v_add_f32_e32 v102, v47, v41
	v_mul_f32_e32 v104, 0xbf4178ce, v103
	v_add_f32_e32 v0, v2, v0
	v_fma_f32 v2, v102, s12, -v104
	v_mul_f32_e32 v4, 0xbe903f40, v87
	v_add_f32_e32 v0, v2, v0
	v_mov_b32_e32 v2, v4
	v_mul_f32_e32 v5, 0x3f0a6770, v77
	v_fmac_f32_e32 v2, 0xbf75a155, v12
	v_mov_b32_e32 v3, v5
	v_add_f32_e32 v2, v37, v2
	v_fmac_f32_e32 v3, 0x3f575c64, v15
	v_mul_f32_e32 v6, 0xbf4178ce, v49
	v_add_f32_e32 v2, v3, v2
	v_mov_b32_e32 v3, v6
	v_fmac_f32_e32 v3, 0xbf27a4f4, v51
	v_mul_f32_e32 v7, 0x3f68dda4, v89
	v_add_f32_e32 v2, v3, v2
	v_mov_b32_e32 v3, v7
	v_fma_f32 v4, v12, s3, -v4
	v_fmac_f32_e32 v3, 0x3ed4b147, v13
	v_mul_f32_e32 v9, 0xbf7d64f0, v90
	v_add_f32_e32 v4, v37, v4
	v_fma_f32 v5, v15, s7, -v5
	v_add_f32_e32 v2, v3, v2
	v_mov_b32_e32 v3, v9
	v_add_f32_e32 v4, v5, v4
	v_fma_f32 v5, v51, s12, -v6
	v_fmac_f32_e32 v3, 0xbe11bafb, v43
	v_mul_f32_e32 v105, 0xbe903f40, v91
	v_add_f32_e32 v4, v5, v4
	v_fma_f32 v5, v13, s6, -v7
	v_add_f32_e32 v3, v3, v2
	v_fma_f32 v2, v45, s3, -v105
	v_mul_f32_e32 v106, 0x3f0a6770, v93
	v_add_f32_e32 v4, v5, v4
	v_fma_f32 v5, v43, s2, -v9
	v_fmac_f32_e32 v105, 0xbf75a155, v45
	v_add_f32_e32 v2, v36, v2
	v_fma_f32 v107, v92, s7, -v106
	v_add_f32_e32 v5, v5, v4
	v_add_f32_e32 v4, v36, v105
	v_fmac_f32_e32 v106, 0x3f575c64, v92
	v_mul_f32_e32 v105, 0xbf27a4f4, v12
	v_add_f32_e32 v2, v107, v2
	v_mul_f32_e32 v107, 0xbf4178ce, v97
	v_add_f32_e32 v4, v106, v4
	v_mov_b32_e32 v6, v105
	v_mul_f32_e32 v106, 0xbe11bafb, v15
	v_fma_f32 v108, v95, s12, -v107
	v_fmac_f32_e32 v107, 0xbf27a4f4, v95
	v_fmac_f32_e32 v6, 0x3f4178ce, v87
	v_mov_b32_e32 v7, v106
	v_add_f32_e32 v2, v108, v2
	v_mul_f32_e32 v108, 0x3f68dda4, v100
	v_add_f32_e32 v4, v107, v4
	v_add_f32_e32 v6, v37, v6
	v_fmac_f32_e32 v7, 0xbf7d64f0, v77
	v_mul_f32_e32 v107, 0x3f575c64, v51
	v_fma_f32 v109, v99, s6, -v108
	v_fmac_f32_e32 v108, 0x3ed4b147, v99
	v_add_f32_e32 v6, v7, v6
	v_mov_b32_e32 v7, v107
	v_add_f32_e32 v2, v109, v2
	v_mul_f32_e32 v109, 0xbf7d64f0, v103
	v_add_f32_e32 v4, v108, v4
	v_fmac_f32_e32 v7, 0x3f0a6770, v49
	v_mul_f32_e32 v108, 0xbf75a155, v13
	v_fma_f32 v110, v102, s2, -v109
	v_fmac_f32_e32 v109, 0xbe11bafb, v102
	v_add_f32_e32 v6, v7, v6
	v_mov_b32_e32 v7, v108
	v_add_f32_e32 v4, v109, v4
	v_fmac_f32_e32 v7, 0x3e903f40, v89
	v_mul_f32_e32 v109, 0x3ed4b147, v43
	v_add_f32_e32 v6, v7, v6
	v_mov_b32_e32 v7, v109
	v_add_f32_e32 v2, v110, v2
	v_fmac_f32_e32 v7, 0xbf68dda4, v90
	v_mul_f32_e32 v110, 0xbf4178ce, v91
	v_add_f32_e32 v7, v7, v6
	v_mov_b32_e32 v6, v110
	v_mul_f32_e32 v111, 0x3f7d64f0, v93
	v_fmac_f32_e32 v6, 0xbf27a4f4, v45
	v_mov_b32_e32 v9, v111
	v_add_f32_e32 v6, v36, v6
	v_fmac_f32_e32 v9, 0xbe11bafb, v92
	v_mul_f32_e32 v112, 0xbf0a6770, v97
	v_add_f32_e32 v6, v9, v6
	v_mov_b32_e32 v9, v112
	v_fmac_f32_e32 v9, 0x3f575c64, v95
	v_mul_f32_e32 v113, 0xbe903f40, v100
	v_add_f32_e32 v6, v9, v6
	v_mov_b32_e32 v9, v113
	;; [unrolled: 4-line block ×3, first 2 shown]
	v_fmac_f32_e32 v9, 0x3ed4b147, v102
	v_add_f32_e32 v6, v9, v6
	v_fma_f32 v9, v12, s2, -v88
	v_add_f32_e32 v9, v37, v9
	v_fma_f32 v78, v15, s3, -v78
	;; [unrolled: 2-line block ×4, first 2 shown]
	v_mul_f32_e32 v54, 0x3ed4b147, v12
	v_add_f32_e32 v9, v10, v9
	v_fma_f32 v8, v43, s12, -v8
	v_fmac_f32_e32 v11, 0xbe11bafb, v45
	v_mov_b32_e32 v10, v54
	v_mul_f32_e32 v78, 0xbf27a4f4, v15
	v_add_f32_e32 v9, v8, v9
	v_add_f32_e32 v8, v36, v11
	v_fmac_f32_e32 v10, 0x3f68dda4, v87
	v_mov_b32_e32 v11, v78
	v_add_f32_e32 v10, v37, v10
	v_fmac_f32_e32 v11, 0x3f4178ce, v77
	v_mul_f32_e32 v88, 0xbf75a155, v51
	v_fmac_f32_e32 v94, 0xbf75a155, v92
	v_add_f32_e32 v10, v11, v10
	v_mov_b32_e32 v11, v88
	v_add_f32_e32 v8, v94, v8
	v_fmac_f32_e32 v11, 0xbe903f40, v49
	v_mul_f32_e32 v94, 0xbe11bafb, v13
	v_fmac_f32_e32 v98, 0x3ed4b147, v95
	v_add_f32_e32 v10, v11, v10
	;; [unrolled: 6-line block ×3, first 2 shown]
	v_mov_b32_e32 v11, v98
	v_add_f32_e32 v8, v101, v8
	v_fmac_f32_e32 v104, 0xbf27a4f4, v102
	v_fmac_f32_e32 v11, 0xbf0a6770, v90
	v_mul_f32_e32 v101, 0xbf68dda4, v91
	v_add_f32_e32 v8, v104, v8
	v_add_f32_e32 v11, v11, v10
	v_mov_b32_e32 v10, v101
	v_mul_f32_e32 v104, 0xbf4178ce, v93
	v_fmac_f32_e32 v10, 0x3ed4b147, v45
	v_mov_b32_e32 v115, v104
	v_add_f32_e32 v10, v36, v10
	v_fmac_f32_e32 v115, 0xbf27a4f4, v92
	v_add_f32_e32 v10, v115, v10
	v_mul_f32_e32 v115, 0x3e903f40, v97
	v_mov_b32_e32 v116, v115
	v_fmac_f32_e32 v116, 0xbf75a155, v95
	v_add_f32_e32 v10, v116, v10
	v_mul_f32_e32 v116, 0x3f7d64f0, v100
	v_mov_b32_e32 v117, v116
	;; [unrolled: 4-line block ×4, first 2 shown]
	v_mul_f32_e32 v119, 0x3ed4b147, v15
	v_fmac_f32_e32 v12, 0x3f0a6770, v87
	v_mov_b32_e32 v15, v119
	v_add_f32_e32 v12, v37, v12
	v_fmac_f32_e32 v15, 0x3f68dda4, v77
	v_mul_f32_e32 v51, 0xbe11bafb, v51
	v_add_f32_e32 v12, v15, v12
	v_mov_b32_e32 v15, v51
	v_mul_f32_e32 v120, 0xbf27a4f4, v13
	v_fmac_f32_e32 v15, 0x3f7d64f0, v49
	v_mov_b32_e32 v13, v120
	v_add_f32_e32 v12, v15, v12
	v_fmac_f32_e32 v13, 0x3f4178ce, v89
	v_mul_f32_e32 v43, 0xbf75a155, v43
	v_add_f32_e32 v12, v13, v12
	v_mov_b32_e32 v13, v43
	v_fmac_f32_e32 v13, 0x3e903f40, v90
	v_mul_f32_e32 v91, 0xbf0a6770, v91
	v_add_f32_e32 v13, v13, v12
	v_mov_b32_e32 v12, v91
	v_mul_f32_e32 v93, 0xbf68dda4, v93
	v_fmac_f32_e32 v12, 0x3f575c64, v45
	v_mov_b32_e32 v15, v93
	v_add_f32_e32 v12, v36, v12
	v_fmac_f32_e32 v15, 0x3ed4b147, v92
	v_mul_f32_e32 v97, 0xbf7d64f0, v97
	v_add_f32_e32 v12, v15, v12
	v_mov_b32_e32 v15, v97
	v_fmac_f32_e32 v15, 0xbe11bafb, v95
	v_mul_f32_e32 v100, 0xbf4178ce, v100
	v_add_f32_e32 v12, v15, v12
	v_mov_b32_e32 v15, v100
	;; [unrolled: 4-line block ×3, first 2 shown]
	v_fmac_f32_e32 v15, 0xbf75a155, v102
	v_add_f32_e32 v12, v15, v12
	v_add_f32_e32 v15, v19, v37
	v_add_f32_e32 v14, v14, v15
	v_add_f32_e32 v14, v50, v14
	v_add_f32_e32 v14, v40, v14
	v_add_f32_e32 v14, v42, v14
	v_add_f32_e32 v14, v44, v14
	v_add_f32_e32 v14, v46, v14
	v_add_f32_e32 v14, v52, v14
	v_fmac_f32_e32 v105, 0xbf4178ce, v87
	v_add_f32_e32 v14, v16, v14
	v_add_f32_e32 v16, v37, v105
	v_fmac_f32_e32 v106, 0x3f7d64f0, v77
	v_add_f32_e32 v16, v106, v16
	v_fmac_f32_e32 v107, 0xbf0a6770, v49
	v_add_f32_e32 v15, v18, v14
	v_add_f32_e32 v14, v36, v85
	;; [unrolled: 1-line block ×3, first 2 shown]
	v_fmac_f32_e32 v108, 0xbe903f40, v89
	v_add_f32_e32 v14, v38, v14
	v_add_f32_e32 v16, v108, v16
	v_fmac_f32_e32 v109, 0x3f68dda4, v90
	v_add_f32_e32 v14, v17, v14
	v_add_f32_e32 v17, v109, v16
	v_fma_f32 v16, v45, s12, -v110
	v_add_f32_e32 v16, v36, v16
	v_fma_f32 v18, v92, s2, -v111
	;; [unrolled: 2-line block ×5, first 2 shown]
	v_fmac_f32_e32 v54, 0xbf68dda4, v87
	v_add_f32_e32 v16, v18, v16
	v_add_f32_e32 v18, v37, v54
	v_fmac_f32_e32 v78, 0xbf4178ce, v77
	v_add_f32_e32 v18, v78, v18
	v_fmac_f32_e32 v88, 0x3e903f40, v49
	;; [unrolled: 2-line block ×4, first 2 shown]
	v_add_f32_e32 v19, v98, v18
	v_fma_f32 v18, v45, s6, -v101
	v_add_f32_e32 v18, v36, v18
	v_fma_f32 v38, v92, s12, -v104
	;; [unrolled: 2-line block ×6, first 2 shown]
	v_add_f32_e32 v14, v53, v14
	v_add_f32_e32 v36, v36, v38
	v_fma_f32 v38, v92, s6, -v93
	v_add_f32_e32 v14, v41, v14
	v_add_f32_e32 v36, v38, v36
	v_fma_f32 v38, v95, s2, -v97
	v_add_f32_e32 v14, v47, v14
	v_fmac_f32_e32 v118, 0xbf0a6770, v87
	v_add_f32_e32 v36, v38, v36
	v_fma_f32 v38, v99, s12, -v100
	v_add_f32_e32 v14, v55, v14
	v_add_f32_e32 v37, v37, v118
	v_fmac_f32_e32 v119, 0xbf68dda4, v77
	v_add_f32_e32 v36, v38, v36
	v_fma_f32 v38, v102, s3, -v103
	v_add_f32_e32 v14, v48, v14
	v_add_f32_e32 v37, v119, v37
	v_fmac_f32_e32 v51, 0xbf7d64f0, v49
	v_add_f32_e32 v36, v38, v36
	v_mul_u32_u24_e32 v38, 0xb0, v83
	v_add_f32_e32 v14, v39, v14
	v_add_f32_e32 v37, v51, v37
	v_fmac_f32_e32 v120, 0xbf4178ce, v89
	v_or_b32_e32 v38, v38, v82
	v_add_f32_e32 v14, v86, v14
	v_add_f32_e32 v37, v120, v37
	v_fmac_f32_e32 v43, 0xbe903f40, v90
	v_lshl_add_u32 v38, v38, 3, v81
	v_add_f32_e32 v37, v43, v37
	ds_write2_b64 v38, v[14:15], v[12:13] offset1:16
	ds_write2_b64 v38, v[10:11], v[8:9] offset0:32 offset1:48
	ds_write2_b64 v38, v[6:7], v[4:5] offset0:64 offset1:80
	;; [unrolled: 1-line block ×4, first 2 shown]
	ds_write_b64 v38, v[36:37] offset:1280
.LBB0_9:
	s_or_b64 exec, exec, s[0:1]
	v_add_u32_e32 v38, 0x400, v80
	s_waitcnt lgkmcnt(0)
	s_barrier
	ds_read2_b64 v[4:7], v38 offset0:48 offset1:136
	v_add_u32_e32 v39, 0x800, v80
	ds_read2_b64 v[8:11], v39 offset0:96 offset1:184
	v_add_u32_e32 v40, 0x1000, v80
	;; [unrolled: 2-line block ×3, first 2 shown]
	ds_read2_b64 v[16:19], v41 offset0:64 offset1:152
	s_waitcnt lgkmcnt(3)
	v_mul_f32_e32 v42, v29, v5
	ds_read2_b64 v[0:3], v80 offset1:88
	v_fmac_f32_e32 v42, v28, v4
	v_mul_f32_e32 v4, v29, v4
	v_fma_f32 v28, v28, v5, -v4
	s_waitcnt lgkmcnt(3)
	v_mul_f32_e32 v29, v31, v9
	v_mul_f32_e32 v4, v31, v8
	v_fmac_f32_e32 v29, v30, v8
	v_fma_f32 v30, v30, v9, -v4
	s_waitcnt lgkmcnt(2)
	v_mul_f32_e32 v31, v21, v13
	v_mul_f32_e32 v4, v21, v12
	v_fmac_f32_e32 v31, v20, v12
	v_fma_f32 v12, v20, v13, -v4
	s_waitcnt lgkmcnt(1)
	v_mul_f32_e32 v4, v23, v16
	v_mul_f32_e32 v9, v23, v17
	v_fma_f32 v13, v22, v17, -v4
	v_mul_f32_e32 v17, v33, v7
	v_add_f32_e32 v5, v29, v31
	v_fmac_f32_e32 v17, v32, v6
	v_mul_f32_e32 v4, v33, v6
	s_waitcnt lgkmcnt(0)
	v_fma_f32 v6, -0.5, v5, v0
	v_fmac_f32_e32 v9, v22, v16
	v_fma_f32 v20, v32, v7, -v4
	v_mul_f32_e32 v21, v35, v11
	v_mul_f32_e32 v4, v35, v10
	v_sub_f32_e32 v5, v28, v13
	v_mov_b32_e32 v8, v6
	v_fmac_f32_e32 v21, v34, v10
	v_fma_f32 v22, v34, v11, -v4
	v_fmac_f32_e32 v8, 0xbf737871, v5
	v_sub_f32_e32 v7, v30, v12
	v_sub_f32_e32 v10, v42, v29
	;; [unrolled: 1-line block ×3, first 2 shown]
	v_fmac_f32_e32 v6, 0x3f737871, v5
	v_mul_f32_e32 v23, v25, v15
	v_mul_f32_e32 v4, v25, v14
	v_fmac_f32_e32 v8, 0xbf167918, v7
	v_add_f32_e32 v10, v10, v11
	v_fmac_f32_e32 v6, 0x3f167918, v7
	v_fmac_f32_e32 v23, v24, v14
	v_fma_f32 v24, v24, v15, -v4
	v_mul_f32_e32 v25, v27, v19
	v_mul_f32_e32 v4, v27, v18
	v_fmac_f32_e32 v8, 0x3e9e377a, v10
	v_fmac_f32_e32 v6, 0x3e9e377a, v10
	v_add_f32_e32 v10, v42, v9
	v_fmac_f32_e32 v25, v26, v18
	v_fma_f32 v26, v26, v19, -v4
	v_add_f32_e32 v4, v0, v42
	v_fma_f32 v0, -0.5, v10, v0
	v_mov_b32_e32 v10, v0
	v_add_f32_e32 v4, v4, v29
	v_fmac_f32_e32 v10, 0x3f737871, v7
	v_fmac_f32_e32 v0, 0xbf737871, v7
	v_add_f32_e32 v7, v30, v12
	v_add_f32_e32 v4, v4, v31
	v_sub_f32_e32 v11, v29, v42
	v_sub_f32_e32 v14, v31, v9
	v_fma_f32 v7, -0.5, v7, v1
	v_add_f32_e32 v4, v4, v9
	v_fmac_f32_e32 v10, 0xbf167918, v5
	v_add_f32_e32 v11, v11, v14
	v_fmac_f32_e32 v0, 0x3f167918, v5
	v_sub_f32_e32 v14, v42, v9
	v_mov_b32_e32 v9, v7
	v_fmac_f32_e32 v10, 0x3e9e377a, v11
	v_fmac_f32_e32 v0, 0x3e9e377a, v11
	;; [unrolled: 1-line block ×3, first 2 shown]
	v_sub_f32_e32 v15, v29, v31
	v_sub_f32_e32 v11, v28, v30
	v_sub_f32_e32 v16, v13, v12
	v_fmac_f32_e32 v7, 0xbf737871, v14
	v_fmac_f32_e32 v9, 0x3f167918, v15
	v_add_f32_e32 v11, v11, v16
	v_fmac_f32_e32 v7, 0xbf167918, v15
	v_add_f32_e32 v5, v1, v28
	v_fmac_f32_e32 v9, 0x3e9e377a, v11
	v_fmac_f32_e32 v7, 0x3e9e377a, v11
	v_add_f32_e32 v11, v28, v13
	v_add_f32_e32 v5, v5, v30
	v_fma_f32 v1, -0.5, v11, v1
	v_add_f32_e32 v5, v5, v12
	v_mov_b32_e32 v11, v1
	v_add_f32_e32 v5, v5, v13
	v_fmac_f32_e32 v11, 0xbf737871, v15
	v_sub_f32_e32 v12, v12, v13
	v_fmac_f32_e32 v1, 0x3f737871, v15
	v_add_f32_e32 v13, v21, v23
	v_fmac_f32_e32 v11, 0x3f167918, v14
	v_sub_f32_e32 v16, v30, v28
	v_fmac_f32_e32 v1, 0xbf167918, v14
	v_fma_f32 v14, -0.5, v13, v2
	v_add_f32_e32 v12, v16, v12
	v_sub_f32_e32 v13, v20, v26
	v_mov_b32_e32 v16, v14
	v_fmac_f32_e32 v16, 0xbf737871, v13
	v_sub_f32_e32 v15, v22, v24
	v_sub_f32_e32 v18, v17, v21
	;; [unrolled: 1-line block ×3, first 2 shown]
	v_fmac_f32_e32 v14, 0x3f737871, v13
	v_fmac_f32_e32 v16, 0xbf167918, v15
	v_add_f32_e32 v18, v18, v19
	v_fmac_f32_e32 v14, 0x3f167918, v15
	v_fmac_f32_e32 v16, 0x3e9e377a, v18
	;; [unrolled: 1-line block ×3, first 2 shown]
	v_add_f32_e32 v18, v17, v25
	v_fmac_f32_e32 v11, 0x3e9e377a, v12
	v_fmac_f32_e32 v1, 0x3e9e377a, v12
	v_add_f32_e32 v12, v2, v17
	v_fma_f32 v2, -0.5, v18, v2
	v_mov_b32_e32 v18, v2
	v_add_f32_e32 v12, v12, v21
	v_fmac_f32_e32 v18, 0x3f737871, v15
	v_fmac_f32_e32 v2, 0xbf737871, v15
	v_add_f32_e32 v15, v22, v24
	v_add_f32_e32 v12, v12, v23
	v_sub_f32_e32 v19, v21, v17
	v_sub_f32_e32 v27, v23, v25
	v_fma_f32 v15, -0.5, v15, v3
	v_add_f32_e32 v12, v12, v25
	v_fmac_f32_e32 v18, 0xbf167918, v13
	v_add_f32_e32 v19, v19, v27
	v_fmac_f32_e32 v2, 0x3f167918, v13
	v_sub_f32_e32 v25, v17, v25
	v_mov_b32_e32 v17, v15
	v_fmac_f32_e32 v18, 0x3e9e377a, v19
	v_fmac_f32_e32 v2, 0x3e9e377a, v19
	v_fmac_f32_e32 v17, 0x3f737871, v25
	v_sub_f32_e32 v21, v21, v23
	v_sub_f32_e32 v19, v20, v22
	;; [unrolled: 1-line block ×3, first 2 shown]
	v_fmac_f32_e32 v15, 0xbf737871, v25
	v_fmac_f32_e32 v17, 0x3f167918, v21
	v_add_f32_e32 v19, v19, v23
	v_fmac_f32_e32 v15, 0xbf167918, v21
	v_fmac_f32_e32 v17, 0x3e9e377a, v19
	v_fmac_f32_e32 v15, 0x3e9e377a, v19
	v_add_f32_e32 v19, v20, v26
	v_add_f32_e32 v13, v3, v20
	v_fmac_f32_e32 v3, -0.5, v19
	v_mov_b32_e32 v19, v3
	v_add_f32_e32 v13, v13, v22
	v_fmac_f32_e32 v19, 0xbf737871, v21
	v_sub_f32_e32 v20, v22, v20
	v_sub_f32_e32 v22, v24, v26
	v_add_f32_e32 v13, v13, v24
	v_fmac_f32_e32 v19, 0x3f167918, v25
	v_add_f32_e32 v20, v20, v22
	v_fmac_f32_e32 v3, 0x3f737871, v21
	ds_write_b64 v80, v[4:5]
	ds_write2_b64 v38, v[8:9], v[10:11] offset0:48 offset1:224
	v_add_u32_e32 v4, 0x1000, v96
	v_add_f32_e32 v13, v13, v26
	v_fmac_f32_e32 v19, 0x3e9e377a, v20
	v_fmac_f32_e32 v3, 0xbf167918, v25
	ds_write2_b64 v4, v[0:1], v[6:7] offset0:16 offset1:192
	ds_write_b64 v80, v[12:13] offset:704
	v_add_u32_e32 v0, 0x400, v84
	v_mad_u64_u32 v[36:37], s[0:1], s10, v68, 0
	v_fmac_f32_e32 v3, 0x3e9e377a, v20
	ds_write2_b64 v0, v[16:17], v[18:19] offset0:48 offset1:224
	v_add_u32_e32 v0, 0x1000, v84
	ds_write2_b64 v0, v[2:3], v[14:15] offset0:16 offset1:192
	s_waitcnt lgkmcnt(0)
	s_barrier
	ds_read2_b64 v[0:3], v80 offset1:88
	v_mov_b32_e32 v4, v37
	v_mad_u64_u32 v[4:5], s[0:1], s11, v68, v[4:5]
	s_mov_b32 s0, 0x29e4129e
	s_waitcnt lgkmcnt(0)
	v_mul_f32_e32 v5, v74, v1
	v_fmac_f32_e32 v5, v73, v0
	v_cvt_f64_f32_e32 v[5:6], v5
	s_mov_b32 s1, 0x3f529e41
	v_mad_u64_u32 v[8:9], s[2:3], s8, v79, 0
	v_mul_f64 v[5:6], v[5:6], s[0:1]
	v_mul_f32_e32 v0, v74, v0
	v_fma_f32 v0, v73, v1, -v0
	v_cvt_f64_f32_e32 v[0:1], v0
	v_mov_b32_e32 v37, v4
	v_mov_b32_e32 v4, v9
	;; [unrolled: 1-line block ×3, first 2 shown]
	v_mul_f64 v[0:1], v[0:1], s[0:1]
	v_mad_u64_u32 v[9:10], s[2:3], s9, v79, v[4:5]
	v_cvt_f32_f64_e32 v10, v[5:6]
	ds_read2_b64 v[4:7], v39 offset0:96 offset1:184
	v_lshlrev_b64 v[8:9], 3, v[8:9]
	s_mul_i32 s2, s9, 0xdc0
	s_mul_hi_u32 s3, s8, 0xdc0
	v_cvt_f32_f64_e32 v11, v[0:1]
	s_waitcnt lgkmcnt(0)
	v_mul_f32_e32 v12, v70, v7
	v_fmac_f32_e32 v12, v69, v6
	v_mul_f32_e32 v6, v70, v6
	v_fma_f32 v6, v69, v7, -v6
	v_cvt_f64_f32_e32 v[12:13], v12
	v_cvt_f64_f32_e32 v[6:7], v6
	v_lshlrev_b64 v[0:1], 3, v[36:37]
	s_add_i32 s2, s3, s2
	v_add_co_u32_e32 v15, vcc, s4, v0
	v_addc_co_u32_e32 v14, vcc, v14, v1, vcc
	v_mul_f64 v[0:1], v[12:13], s[0:1]
	v_mul_f64 v[6:7], v[6:7], s[0:1]
	v_add_co_u32_e32 v8, vcc, v15, v8
	v_addc_co_u32_e32 v9, vcc, v14, v9, vcc
	s_mul_i32 s3, s8, 0xdc0
	global_store_dwordx2 v[8:9], v[10:11], off
	v_cvt_f32_f64_e32 v0, v[0:1]
	v_cvt_f32_f64_e32 v1, v[6:7]
	v_mul_f32_e32 v6, v76, v3
	v_fmac_f32_e32 v6, v75, v2
	v_mul_f32_e32 v2, v76, v2
	v_fma_f32 v2, v75, v3, -v2
	v_cvt_f64_f32_e32 v[2:3], v2
	v_cvt_f64_f32_e32 v[6:7], v6
	v_mov_b32_e32 v10, s2
	v_add_co_u32_e32 v8, vcc, s3, v8
	v_mul_f64 v[2:3], v[2:3], s[0:1]
	v_mul_f64 v[6:7], v[6:7], s[0:1]
	v_addc_co_u32_e32 v9, vcc, v9, v10, vcc
	global_store_dwordx2 v[8:9], v[0:1], off
	s_mul_hi_u32 s5, s8, 0xfffff500
	s_mul_i32 s4, s9, 0xfffff500
	s_sub_i32 s5, s5, s8
	v_cvt_f32_f64_e32 v11, v[2:3]
	ds_read2_b64 v[0:3], v40 offset0:16 offset1:104
	v_cvt_f32_f64_e32 v10, v[6:7]
	s_add_i32 s4, s5, s4
	s_mul_i32 s5, s8, 0xfffff500
	v_mov_b32_e32 v15, s4
	s_waitcnt lgkmcnt(0)
	v_mul_f32_e32 v6, v72, v1
	v_fmac_f32_e32 v6, v71, v0
	v_mul_f32_e32 v0, v72, v0
	v_fma_f32 v0, v71, v1, -v0
	v_cvt_f64_f32_e32 v[0:1], v0
	v_cvt_f64_f32_e32 v[6:7], v6
	v_add_co_u32_e32 v14, vcc, s5, v8
	v_mul_f64 v[0:1], v[0:1], s[0:1]
	v_mul_f64 v[12:13], v[6:7], s[0:1]
	v_addc_co_u32_e32 v15, vcc, v9, v15, vcc
	ds_read2_b64 v[6:9], v38 offset0:48 offset1:136
	global_store_dwordx2 v[14:15], v[10:11], off
	v_cvt_f32_f64_e32 v11, v[0:1]
	s_waitcnt lgkmcnt(0)
	v_mul_f32_e32 v0, v67, v7
	v_fmac_f32_e32 v0, v66, v6
	v_mul_f32_e32 v6, v67, v6
	v_fma_f32 v6, v66, v7, -v6
	v_cvt_f64_f32_e32 v[0:1], v0
	v_cvt_f64_f32_e32 v[6:7], v6
	v_cvt_f32_f64_e32 v10, v[12:13]
	v_mov_b32_e32 v13, s2
	v_add_co_u32_e32 v12, vcc, s3, v14
	v_addc_co_u32_e32 v13, vcc, v15, v13, vcc
	v_mul_f64 v[0:1], v[0:1], s[0:1]
	v_mul_f64 v[6:7], v[6:7], s[0:1]
	global_store_dwordx2 v[12:13], v[10:11], off
	v_mul_f32_e32 v10, v65, v3
	v_fmac_f32_e32 v10, v64, v2
	v_mul_f32_e32 v2, v65, v2
	v_fma_f32 v2, v64, v3, -v2
	v_cvt_f64_f32_e32 v[10:11], v10
	v_cvt_f64_f32_e32 v[2:3], v2
	v_cvt_f32_f64_e32 v0, v[0:1]
	v_cvt_f32_f64_e32 v1, v[6:7]
	v_mul_f64 v[6:7], v[10:11], s[0:1]
	v_mul_f64 v[2:3], v[2:3], s[0:1]
	v_mov_b32_e32 v11, s4
	v_add_co_u32_e32 v10, vcc, s5, v12
	v_addc_co_u32_e32 v11, vcc, v13, v11, vcc
	global_store_dwordx2 v[10:11], v[0:1], off
	v_mul_f32_e32 v0, v63, v9
	v_fmac_f32_e32 v0, v62, v8
	v_cvt_f64_f32_e32 v[12:13], v0
	v_mul_f32_e32 v0, v63, v8
	v_fma_f32 v0, v62, v9, -v0
	v_cvt_f32_f64_e32 v6, v[6:7]
	v_cvt_f32_f64_e32 v7, v[2:3]
	v_cvt_f64_f32_e32 v[8:9], v0
	ds_read2_b64 v[0:3], v41 offset0:64 offset1:152
	v_mov_b32_e32 v14, s2
	v_add_co_u32_e32 v10, vcc, s3, v10
	v_addc_co_u32_e32 v11, vcc, v11, v14, vcc
	global_store_dwordx2 v[10:11], v[6:7], off
	v_mul_f64 v[6:7], v[12:13], s[0:1]
	s_waitcnt lgkmcnt(0)
	v_mul_f32_e32 v12, v61, v1
	v_fmac_f32_e32 v12, v60, v0
	v_mul_f32_e32 v0, v61, v0
	v_fma_f32 v0, v60, v1, -v0
	v_mul_f64 v[8:9], v[8:9], s[0:1]
	v_cvt_f64_f32_e32 v[0:1], v0
	v_cvt_f64_f32_e32 v[12:13], v12
	v_cvt_f32_f64_e32 v6, v[6:7]
	v_add_co_u32_e32 v10, vcc, s5, v10
	v_mul_f64 v[0:1], v[0:1], s[0:1]
	v_cvt_f32_f64_e32 v7, v[8:9]
	v_mul_f64 v[8:9], v[12:13], s[0:1]
	v_mov_b32_e32 v12, s4
	v_addc_co_u32_e32 v11, vcc, v11, v12, vcc
	global_store_dwordx2 v[10:11], v[6:7], off
	v_cvt_f32_f64_e32 v7, v[0:1]
	v_mul_f32_e32 v0, v59, v5
	v_fmac_f32_e32 v0, v58, v4
	v_mul_f32_e32 v4, v59, v4
	v_fma_f32 v4, v58, v5, -v4
	v_cvt_f64_f32_e32 v[0:1], v0
	v_cvt_f64_f32_e32 v[4:5], v4
	v_cvt_f32_f64_e32 v6, v[8:9]
	v_mov_b32_e32 v9, s2
	v_add_co_u32_e32 v8, vcc, s3, v10
	v_addc_co_u32_e32 v9, vcc, v11, v9, vcc
	v_mul_f64 v[0:1], v[0:1], s[0:1]
	v_mul_f64 v[4:5], v[4:5], s[0:1]
	global_store_dwordx2 v[8:9], v[6:7], off
	v_mul_f32_e32 v6, v57, v3
	v_fmac_f32_e32 v6, v56, v2
	v_mul_f32_e32 v2, v57, v2
	v_fma_f32 v2, v56, v3, -v2
	v_cvt_f64_f32_e32 v[6:7], v6
	v_cvt_f64_f32_e32 v[2:3], v2
	v_cvt_f32_f64_e32 v0, v[0:1]
	v_cvt_f32_f64_e32 v1, v[4:5]
	v_mul_f64 v[4:5], v[6:7], s[0:1]
	v_mul_f64 v[2:3], v[2:3], s[0:1]
	v_mov_b32_e32 v7, s4
	v_add_co_u32_e32 v6, vcc, s5, v8
	v_addc_co_u32_e32 v7, vcc, v9, v7, vcc
	global_store_dwordx2 v[6:7], v[0:1], off
	v_cvt_f32_f64_e32 v0, v[4:5]
	v_cvt_f32_f64_e32 v1, v[2:3]
	v_mov_b32_e32 v3, s2
	v_add_co_u32_e32 v2, vcc, s3, v6
	v_addc_co_u32_e32 v3, vcc, v7, v3, vcc
	global_store_dwordx2 v[2:3], v[0:1], off
.LBB0_10:
	s_endpgm
	.section	.rodata,"a",@progbits
	.p2align	6, 0x0
	.amdhsa_kernel bluestein_single_back_len880_dim1_sp_op_CI_CI
		.amdhsa_group_segment_fixed_size 14080
		.amdhsa_private_segment_fixed_size 0
		.amdhsa_kernarg_size 104
		.amdhsa_user_sgpr_count 6
		.amdhsa_user_sgpr_private_segment_buffer 1
		.amdhsa_user_sgpr_dispatch_ptr 0
		.amdhsa_user_sgpr_queue_ptr 0
		.amdhsa_user_sgpr_kernarg_segment_ptr 1
		.amdhsa_user_sgpr_dispatch_id 0
		.amdhsa_user_sgpr_flat_scratch_init 0
		.amdhsa_user_sgpr_private_segment_size 0
		.amdhsa_uses_dynamic_stack 0
		.amdhsa_system_sgpr_private_segment_wavefront_offset 0
		.amdhsa_system_sgpr_workgroup_id_x 1
		.amdhsa_system_sgpr_workgroup_id_y 0
		.amdhsa_system_sgpr_workgroup_id_z 0
		.amdhsa_system_sgpr_workgroup_info 0
		.amdhsa_system_vgpr_workitem_id 0
		.amdhsa_next_free_vgpr 166
		.amdhsa_next_free_sgpr 20
		.amdhsa_reserve_vcc 1
		.amdhsa_reserve_flat_scratch 0
		.amdhsa_float_round_mode_32 0
		.amdhsa_float_round_mode_16_64 0
		.amdhsa_float_denorm_mode_32 3
		.amdhsa_float_denorm_mode_16_64 3
		.amdhsa_dx10_clamp 1
		.amdhsa_ieee_mode 1
		.amdhsa_fp16_overflow 0
		.amdhsa_exception_fp_ieee_invalid_op 0
		.amdhsa_exception_fp_denorm_src 0
		.amdhsa_exception_fp_ieee_div_zero 0
		.amdhsa_exception_fp_ieee_overflow 0
		.amdhsa_exception_fp_ieee_underflow 0
		.amdhsa_exception_fp_ieee_inexact 0
		.amdhsa_exception_int_div_zero 0
	.end_amdhsa_kernel
	.text
.Lfunc_end0:
	.size	bluestein_single_back_len880_dim1_sp_op_CI_CI, .Lfunc_end0-bluestein_single_back_len880_dim1_sp_op_CI_CI
                                        ; -- End function
	.section	.AMDGPU.csdata,"",@progbits
; Kernel info:
; codeLenInByte = 11956
; NumSgprs: 24
; NumVgprs: 166
; ScratchSize: 0
; MemoryBound: 0
; FloatMode: 240
; IeeeMode: 1
; LDSByteSize: 14080 bytes/workgroup (compile time only)
; SGPRBlocks: 2
; VGPRBlocks: 41
; NumSGPRsForWavesPerEU: 24
; NumVGPRsForWavesPerEU: 166
; Occupancy: 1
; WaveLimiterHint : 1
; COMPUTE_PGM_RSRC2:SCRATCH_EN: 0
; COMPUTE_PGM_RSRC2:USER_SGPR: 6
; COMPUTE_PGM_RSRC2:TRAP_HANDLER: 0
; COMPUTE_PGM_RSRC2:TGID_X_EN: 1
; COMPUTE_PGM_RSRC2:TGID_Y_EN: 0
; COMPUTE_PGM_RSRC2:TGID_Z_EN: 0
; COMPUTE_PGM_RSRC2:TIDIG_COMP_CNT: 0
	.type	__hip_cuid_fe4b24962357ee42,@object ; @__hip_cuid_fe4b24962357ee42
	.section	.bss,"aw",@nobits
	.globl	__hip_cuid_fe4b24962357ee42
__hip_cuid_fe4b24962357ee42:
	.byte	0                               ; 0x0
	.size	__hip_cuid_fe4b24962357ee42, 1

	.ident	"AMD clang version 19.0.0git (https://github.com/RadeonOpenCompute/llvm-project roc-6.4.0 25133 c7fe45cf4b819c5991fe208aaa96edf142730f1d)"
	.section	".note.GNU-stack","",@progbits
	.addrsig
	.addrsig_sym __hip_cuid_fe4b24962357ee42
	.amdgpu_metadata
---
amdhsa.kernels:
  - .args:
      - .actual_access:  read_only
        .address_space:  global
        .offset:         0
        .size:           8
        .value_kind:     global_buffer
      - .actual_access:  read_only
        .address_space:  global
        .offset:         8
        .size:           8
        .value_kind:     global_buffer
      - .actual_access:  read_only
        .address_space:  global
        .offset:         16
        .size:           8
        .value_kind:     global_buffer
      - .actual_access:  read_only
        .address_space:  global
        .offset:         24
        .size:           8
        .value_kind:     global_buffer
      - .actual_access:  read_only
        .address_space:  global
        .offset:         32
        .size:           8
        .value_kind:     global_buffer
      - .offset:         40
        .size:           8
        .value_kind:     by_value
      - .address_space:  global
        .offset:         48
        .size:           8
        .value_kind:     global_buffer
      - .address_space:  global
        .offset:         56
        .size:           8
        .value_kind:     global_buffer
      - .address_space:  global
        .offset:         64
        .size:           8
        .value_kind:     global_buffer
      - .address_space:  global
        .offset:         72
        .size:           8
        .value_kind:     global_buffer
      - .offset:         80
        .size:           4
        .value_kind:     by_value
      - .address_space:  global
        .offset:         88
        .size:           8
        .value_kind:     global_buffer
      - .address_space:  global
        .offset:         96
        .size:           8
        .value_kind:     global_buffer
    .group_segment_fixed_size: 14080
    .kernarg_segment_align: 8
    .kernarg_segment_size: 104
    .language:       OpenCL C
    .language_version:
      - 2
      - 0
    .max_flat_workgroup_size: 176
    .name:           bluestein_single_back_len880_dim1_sp_op_CI_CI
    .private_segment_fixed_size: 0
    .sgpr_count:     24
    .sgpr_spill_count: 0
    .symbol:         bluestein_single_back_len880_dim1_sp_op_CI_CI.kd
    .uniform_work_group_size: 1
    .uses_dynamic_stack: false
    .vgpr_count:     166
    .vgpr_spill_count: 0
    .wavefront_size: 64
amdhsa.target:   amdgcn-amd-amdhsa--gfx906
amdhsa.version:
  - 1
  - 2
...

	.end_amdgpu_metadata
